;; amdgpu-corpus repo=vllm-project/vllm kind=compiled arch=gfx90a opt=O3
	.text
	.amdgcn_target "amdgcn-amd-amdhsa--gfx90a"
	.amdhsa_code_object_version 6
	.section	.text._ZN4vllm33apply_repetition_penalties_kernelIfEEvPT_PKbS4_PKS1_iii,"axG",@progbits,_ZN4vllm33apply_repetition_penalties_kernelIfEEvPT_PKbS4_PKS1_iii,comdat
	.protected	_ZN4vllm33apply_repetition_penalties_kernelIfEEvPT_PKbS4_PKS1_iii ; -- Begin function _ZN4vllm33apply_repetition_penalties_kernelIfEEvPT_PKbS4_PKS1_iii
	.globl	_ZN4vllm33apply_repetition_penalties_kernelIfEEvPT_PKbS4_PKS1_iii
	.p2align	8
	.type	_ZN4vllm33apply_repetition_penalties_kernelIfEEvPT_PKbS4_PKS1_iii,@function
_ZN4vllm33apply_repetition_penalties_kernelIfEEvPT_PKbS4_PKS1_iii: ; @_ZN4vllm33apply_repetition_penalties_kernelIfEEvPT_PKbS4_PKS1_iii
; %bb.0:
	s_load_dwordx4 s[0:3], s[4:5], 0x20
	s_waitcnt lgkmcnt(0)
	s_cmp_ge_i32 s6, s0
	s_cbranch_scc1 .LBB0_12
; %bb.1:
	s_mul_i32 s0, s7, s2
	s_add_i32 s2, s0, s2
	s_min_i32 s16, s2, s1
	v_add_u32_e32 v2, s0, v0
	v_cmp_gt_i32_e32 vcc, s16, v2
	s_and_saveexec_b64 s[2:3], vcc
	s_cbranch_execz .LBB0_12
; %bb.2:
	s_load_dwordx8 s[8:15], s[4:5], 0x0
	s_ashr_i32 s7, s6, 31
	s_lshl_b64 s[2:3], s[6:7], 2
	s_load_dword s0, s[4:5], 0x3c
	s_mul_hi_i32 s17, s1, s6
	s_waitcnt lgkmcnt(0)
	s_add_u32 s2, s14, s2
	s_addc_u32 s3, s15, s3
	s_load_dword s7, s[2:3], 0x0
	s_mul_i32 s6, s1, s6
	s_and_b32 s14, s0, 0xffff
	s_mov_b64 s[0:1], 0
	v_mov_b32_e32 v3, s17
	v_mov_b32_e32 v4, s11
	s_branch .LBB0_5
.LBB0_3:                                ;   in Loop: Header=BB0_5 Depth=1
	s_or_b64 exec, exec, s[4:5]
	global_store_dword v[0:1], v6, off
.LBB0_4:                                ;   in Loop: Header=BB0_5 Depth=1
	s_or_b64 exec, exec, s[2:3]
	v_add_u32_e32 v2, s14, v2
	v_cmp_le_i32_e32 vcc, s16, v2
	s_or_b64 s[0:1], vcc, s[0:1]
	s_andn2_b64 exec, exec, s[0:1]
	s_cbranch_execz .LBB0_12
.LBB0_5:                                ; =>This Inner Loop Header: Depth=1
	v_ashrrev_i32_e32 v1, 31, v2
	v_add_co_u32_e32 v0, vcc, s6, v2
	v_addc_co_u32_e32 v1, vcc, v3, v1, vcc
	v_add_co_u32_e32 v6, vcc, s10, v0
	v_addc_co_u32_e32 v7, vcc, v4, v1, vcc
	global_load_ubyte v5, v[6:7], off
	s_mov_b64 s[4:5], -1
	s_waitcnt vmcnt(0)
	v_and_b32_e32 v5, 1, v5
	v_cmp_eq_u32_e32 vcc, 1, v5
	s_xor_b64 s[18:19], vcc, -1
	s_and_saveexec_b64 s[2:3], s[18:19]
	s_cbranch_execz .LBB0_7
; %bb.6:                                ;   in Loop: Header=BB0_5 Depth=1
	v_mov_b32_e32 v5, s13
	v_add_co_u32_e32 v6, vcc, s12, v0
	v_addc_co_u32_e32 v7, vcc, v5, v1, vcc
	global_load_ubyte v5, v[6:7], off
	s_waitcnt vmcnt(0)
	v_and_b32_e32 v5, 1, v5
	v_cmp_eq_u32_e32 vcc, 1, v5
	s_orn2_b64 s[4:5], vcc, exec
.LBB0_7:                                ;   in Loop: Header=BB0_5 Depth=1
	s_or_b64 exec, exec, s[2:3]
	s_and_saveexec_b64 s[2:3], s[4:5]
	s_cbranch_execz .LBB0_4
; %bb.8:                                ;   in Loop: Header=BB0_5 Depth=1
	v_lshlrev_b64 v[0:1], 2, v[0:1]
	v_mov_b32_e32 v5, s9
	v_add_co_u32_e32 v0, vcc, s8, v0
	v_addc_co_u32_e32 v1, vcc, v5, v1, vcc
	global_load_dword v5, v[0:1], off
                                        ; implicit-def: $vgpr6
	s_waitcnt vmcnt(0)
	v_cmp_nlt_f32_e32 vcc, 0, v5
	s_and_saveexec_b64 s[4:5], vcc
	s_xor_b64 s[4:5], exec, s[4:5]
	s_cbranch_execz .LBB0_10
; %bb.9:                                ;   in Loop: Header=BB0_5 Depth=1
	s_waitcnt lgkmcnt(0)
	v_mul_f32_e32 v6, s7, v5
                                        ; implicit-def: $vgpr5
.LBB0_10:                               ;   in Loop: Header=BB0_5 Depth=1
	s_andn2_saveexec_b64 s[4:5], s[4:5]
	s_cbranch_execz .LBB0_3
; %bb.11:                               ;   in Loop: Header=BB0_5 Depth=1
	s_waitcnt lgkmcnt(0)
	v_div_scale_f32 v6, s[18:19], s7, s7, v5
	v_rcp_f32_e32 v7, v6
	v_div_scale_f32 v8, vcc, v5, s7, v5
	v_fma_f32 v9, -v6, v7, 1.0
	v_fmac_f32_e32 v7, v9, v7
	v_mul_f32_e32 v9, v8, v7
	v_fma_f32 v10, -v6, v9, v8
	v_fmac_f32_e32 v9, v10, v7
	v_fma_f32 v6, -v6, v9, v8
	v_div_fmas_f32 v6, v6, v7, v9
	v_div_fixup_f32 v6, v6, s7, v5
	s_branch .LBB0_3
.LBB0_12:
	s_endpgm
	.section	.rodata,"a",@progbits
	.p2align	6, 0x0
	.amdhsa_kernel _ZN4vllm33apply_repetition_penalties_kernelIfEEvPT_PKbS4_PKS1_iii
		.amdhsa_group_segment_fixed_size 0
		.amdhsa_private_segment_fixed_size 0
		.amdhsa_kernarg_size 304
		.amdhsa_user_sgpr_count 6
		.amdhsa_user_sgpr_private_segment_buffer 1
		.amdhsa_user_sgpr_dispatch_ptr 0
		.amdhsa_user_sgpr_queue_ptr 0
		.amdhsa_user_sgpr_kernarg_segment_ptr 1
		.amdhsa_user_sgpr_dispatch_id 0
		.amdhsa_user_sgpr_flat_scratch_init 0
		.amdhsa_user_sgpr_kernarg_preload_length 0
		.amdhsa_user_sgpr_kernarg_preload_offset 0
		.amdhsa_user_sgpr_private_segment_size 0
		.amdhsa_uses_dynamic_stack 0
		.amdhsa_system_sgpr_private_segment_wavefront_offset 0
		.amdhsa_system_sgpr_workgroup_id_x 1
		.amdhsa_system_sgpr_workgroup_id_y 1
		.amdhsa_system_sgpr_workgroup_id_z 0
		.amdhsa_system_sgpr_workgroup_info 0
		.amdhsa_system_vgpr_workitem_id 0
		.amdhsa_next_free_vgpr 11
		.amdhsa_next_free_sgpr 20
		.amdhsa_accum_offset 12
		.amdhsa_reserve_vcc 1
		.amdhsa_reserve_flat_scratch 0
		.amdhsa_float_round_mode_32 0
		.amdhsa_float_round_mode_16_64 0
		.amdhsa_float_denorm_mode_32 3
		.amdhsa_float_denorm_mode_16_64 3
		.amdhsa_dx10_clamp 1
		.amdhsa_ieee_mode 1
		.amdhsa_fp16_overflow 0
		.amdhsa_tg_split 0
		.amdhsa_exception_fp_ieee_invalid_op 0
		.amdhsa_exception_fp_denorm_src 0
		.amdhsa_exception_fp_ieee_div_zero 0
		.amdhsa_exception_fp_ieee_overflow 0
		.amdhsa_exception_fp_ieee_underflow 0
		.amdhsa_exception_fp_ieee_inexact 0
		.amdhsa_exception_int_div_zero 0
	.end_amdhsa_kernel
	.section	.text._ZN4vllm33apply_repetition_penalties_kernelIfEEvPT_PKbS4_PKS1_iii,"axG",@progbits,_ZN4vllm33apply_repetition_penalties_kernelIfEEvPT_PKbS4_PKS1_iii,comdat
.Lfunc_end0:
	.size	_ZN4vllm33apply_repetition_penalties_kernelIfEEvPT_PKbS4_PKS1_iii, .Lfunc_end0-_ZN4vllm33apply_repetition_penalties_kernelIfEEvPT_PKbS4_PKS1_iii
                                        ; -- End function
	.section	.AMDGPU.csdata,"",@progbits
; Kernel info:
; codeLenInByte = 412
; NumSgprs: 24
; NumVgprs: 11
; NumAgprs: 0
; TotalNumVgprs: 11
; ScratchSize: 0
; MemoryBound: 0
; FloatMode: 240
; IeeeMode: 1
; LDSByteSize: 0 bytes/workgroup (compile time only)
; SGPRBlocks: 2
; VGPRBlocks: 1
; NumSGPRsForWavesPerEU: 24
; NumVGPRsForWavesPerEU: 11
; AccumOffset: 12
; Occupancy: 8
; WaveLimiterHint : 0
; COMPUTE_PGM_RSRC2:SCRATCH_EN: 0
; COMPUTE_PGM_RSRC2:USER_SGPR: 6
; COMPUTE_PGM_RSRC2:TRAP_HANDLER: 0
; COMPUTE_PGM_RSRC2:TGID_X_EN: 1
; COMPUTE_PGM_RSRC2:TGID_Y_EN: 1
; COMPUTE_PGM_RSRC2:TGID_Z_EN: 0
; COMPUTE_PGM_RSRC2:TIDIG_COMP_CNT: 0
; COMPUTE_PGM_RSRC3_GFX90A:ACCUM_OFFSET: 2
; COMPUTE_PGM_RSRC3_GFX90A:TG_SPLIT: 0
	.section	.text._ZN4vllm33apply_repetition_penalties_kernelIN3c104HalfEEEvPT_PKbS6_PKS3_iii,"axG",@progbits,_ZN4vllm33apply_repetition_penalties_kernelIN3c104HalfEEEvPT_PKbS6_PKS3_iii,comdat
	.protected	_ZN4vllm33apply_repetition_penalties_kernelIN3c104HalfEEEvPT_PKbS6_PKS3_iii ; -- Begin function _ZN4vllm33apply_repetition_penalties_kernelIN3c104HalfEEEvPT_PKbS6_PKS3_iii
	.globl	_ZN4vllm33apply_repetition_penalties_kernelIN3c104HalfEEEvPT_PKbS6_PKS3_iii
	.p2align	8
	.type	_ZN4vllm33apply_repetition_penalties_kernelIN3c104HalfEEEvPT_PKbS6_PKS3_iii,@function
_ZN4vllm33apply_repetition_penalties_kernelIN3c104HalfEEEvPT_PKbS6_PKS3_iii: ; @_ZN4vllm33apply_repetition_penalties_kernelIN3c104HalfEEEvPT_PKbS6_PKS3_iii
; %bb.0:
	s_load_dwordx4 s[0:3], s[4:5], 0x20
	s_waitcnt lgkmcnt(0)
	s_cmp_ge_i32 s6, s0
	s_cbranch_scc1 .LBB1_12
; %bb.1:
	s_mul_i32 s0, s7, s2
	s_add_i32 s2, s0, s2
	s_min_i32 s16, s2, s1
	v_add_u32_e32 v2, s0, v0
	v_cmp_gt_i32_e32 vcc, s16, v2
	s_and_saveexec_b64 s[2:3], vcc
	s_cbranch_execz .LBB1_12
; %bb.2:
	s_load_dwordx8 s[8:15], s[4:5], 0x0
	s_ashr_i32 s7, s6, 31
	s_lshl_b64 s[2:3], s[6:7], 1
	v_mov_b32_e32 v0, 0
	s_load_dword s0, s[4:5], 0x3c
	s_waitcnt lgkmcnt(0)
	s_add_u32 s2, s14, s2
	s_addc_u32 s3, s15, s3
	global_load_ushort v3, v0, s[2:3]
	s_mul_hi_i32 s2, s1, s6
	s_mul_i32 s6, s1, s6
	s_and_b32 s7, s0, 0xffff
	s_mov_b64 s[0:1], 0
	v_mov_b32_e32 v6, s2
	v_mov_b32_e32 v7, s11
	s_waitcnt vmcnt(0)
	v_cvt_f32_f16_e32 v4, v3
	v_rcp_f32_e32 v5, v4
	s_branch .LBB1_5
.LBB1_3:                                ;   in Loop: Header=BB1_5 Depth=1
	s_or_b64 exec, exec, s[4:5]
	global_store_short v[0:1], v9, off
.LBB1_4:                                ;   in Loop: Header=BB1_5 Depth=1
	s_or_b64 exec, exec, s[2:3]
	v_add_u32_e32 v2, s7, v2
	v_cmp_le_i32_e32 vcc, s16, v2
	s_or_b64 s[0:1], vcc, s[0:1]
	s_andn2_b64 exec, exec, s[0:1]
	s_cbranch_execz .LBB1_12
.LBB1_5:                                ; =>This Inner Loop Header: Depth=1
	v_ashrrev_i32_e32 v1, 31, v2
	v_add_co_u32_e32 v0, vcc, s6, v2
	v_addc_co_u32_e32 v1, vcc, v6, v1, vcc
	v_add_co_u32_e32 v8, vcc, s10, v0
	v_addc_co_u32_e32 v9, vcc, v7, v1, vcc
	global_load_ubyte v8, v[8:9], off
	s_mov_b64 s[4:5], -1
	s_waitcnt vmcnt(0)
	v_and_b32_e32 v8, 1, v8
	v_cmp_eq_u32_e32 vcc, 1, v8
	s_xor_b64 s[14:15], vcc, -1
	s_and_saveexec_b64 s[2:3], s[14:15]
	s_cbranch_execz .LBB1_7
; %bb.6:                                ;   in Loop: Header=BB1_5 Depth=1
	v_mov_b32_e32 v9, s13
	v_add_co_u32_e32 v8, vcc, s12, v0
	v_addc_co_u32_e32 v9, vcc, v9, v1, vcc
	global_load_ubyte v8, v[8:9], off
	s_waitcnt vmcnt(0)
	v_and_b32_e32 v8, 1, v8
	v_cmp_eq_u32_e32 vcc, 1, v8
	s_orn2_b64 s[4:5], vcc, exec
.LBB1_7:                                ;   in Loop: Header=BB1_5 Depth=1
	s_or_b64 exec, exec, s[2:3]
	s_and_saveexec_b64 s[2:3], s[4:5]
	s_cbranch_execz .LBB1_4
; %bb.8:                                ;   in Loop: Header=BB1_5 Depth=1
	v_lshlrev_b64 v[0:1], 1, v[0:1]
	v_mov_b32_e32 v8, s9
	v_add_co_u32_e32 v0, vcc, s8, v0
	v_addc_co_u32_e32 v1, vcc, v8, v1, vcc
	global_load_ushort v8, v[0:1], off
                                        ; implicit-def: $vgpr9
	s_waitcnt vmcnt(0)
	v_cmp_nlt_f16_e32 vcc, 0, v8
	s_and_saveexec_b64 s[4:5], vcc
	s_xor_b64 s[4:5], exec, s[4:5]
; %bb.9:                                ;   in Loop: Header=BB1_5 Depth=1
	v_mul_f16_e32 v9, v8, v3
                                        ; implicit-def: $vgpr8
; %bb.10:                               ;   in Loop: Header=BB1_5 Depth=1
	s_andn2_saveexec_b64 s[4:5], s[4:5]
	s_cbranch_execz .LBB1_3
; %bb.11:                               ;   in Loop: Header=BB1_5 Depth=1
	v_cvt_f32_f16_e32 v9, v8
	v_mul_f32_e32 v10, v9, v5
	v_mad_f32 v11, -v4, v10, v9
	v_mac_f32_e32 v10, v11, v5
	v_mad_f32 v9, -v4, v10, v9
	v_mul_f32_e32 v9, v9, v5
	v_and_b32_e32 v9, 0xff800000, v9
	v_add_f32_e32 v9, v9, v10
	v_cvt_f16_f32_e32 v9, v9
	v_div_fixup_f16 v9, v9, v3, v8
	s_branch .LBB1_3
.LBB1_12:
	s_endpgm
	.section	.rodata,"a",@progbits
	.p2align	6, 0x0
	.amdhsa_kernel _ZN4vllm33apply_repetition_penalties_kernelIN3c104HalfEEEvPT_PKbS6_PKS3_iii
		.amdhsa_group_segment_fixed_size 0
		.amdhsa_private_segment_fixed_size 0
		.amdhsa_kernarg_size 304
		.amdhsa_user_sgpr_count 6
		.amdhsa_user_sgpr_private_segment_buffer 1
		.amdhsa_user_sgpr_dispatch_ptr 0
		.amdhsa_user_sgpr_queue_ptr 0
		.amdhsa_user_sgpr_kernarg_segment_ptr 1
		.amdhsa_user_sgpr_dispatch_id 0
		.amdhsa_user_sgpr_flat_scratch_init 0
		.amdhsa_user_sgpr_kernarg_preload_length 0
		.amdhsa_user_sgpr_kernarg_preload_offset 0
		.amdhsa_user_sgpr_private_segment_size 0
		.amdhsa_uses_dynamic_stack 0
		.amdhsa_system_sgpr_private_segment_wavefront_offset 0
		.amdhsa_system_sgpr_workgroup_id_x 1
		.amdhsa_system_sgpr_workgroup_id_y 1
		.amdhsa_system_sgpr_workgroup_id_z 0
		.amdhsa_system_sgpr_workgroup_info 0
		.amdhsa_system_vgpr_workitem_id 0
		.amdhsa_next_free_vgpr 12
		.amdhsa_next_free_sgpr 17
		.amdhsa_accum_offset 12
		.amdhsa_reserve_vcc 1
		.amdhsa_reserve_flat_scratch 0
		.amdhsa_float_round_mode_32 0
		.amdhsa_float_round_mode_16_64 0
		.amdhsa_float_denorm_mode_32 3
		.amdhsa_float_denorm_mode_16_64 3
		.amdhsa_dx10_clamp 1
		.amdhsa_ieee_mode 1
		.amdhsa_fp16_overflow 0
		.amdhsa_tg_split 0
		.amdhsa_exception_fp_ieee_invalid_op 0
		.amdhsa_exception_fp_denorm_src 0
		.amdhsa_exception_fp_ieee_div_zero 0
		.amdhsa_exception_fp_ieee_overflow 0
		.amdhsa_exception_fp_ieee_underflow 0
		.amdhsa_exception_fp_ieee_inexact 0
		.amdhsa_exception_int_div_zero 0
	.end_amdhsa_kernel
	.section	.text._ZN4vllm33apply_repetition_penalties_kernelIN3c104HalfEEEvPT_PKbS6_PKS3_iii,"axG",@progbits,_ZN4vllm33apply_repetition_penalties_kernelIN3c104HalfEEEvPT_PKbS6_PKS3_iii,comdat
.Lfunc_end1:
	.size	_ZN4vllm33apply_repetition_penalties_kernelIN3c104HalfEEEvPT_PKbS6_PKS3_iii, .Lfunc_end1-_ZN4vllm33apply_repetition_penalties_kernelIN3c104HalfEEEvPT_PKbS6_PKS3_iii
                                        ; -- End function
	.section	.AMDGPU.csdata,"",@progbits
; Kernel info:
; codeLenInByte = 400
; NumSgprs: 21
; NumVgprs: 12
; NumAgprs: 0
; TotalNumVgprs: 12
; ScratchSize: 0
; MemoryBound: 0
; FloatMode: 240
; IeeeMode: 1
; LDSByteSize: 0 bytes/workgroup (compile time only)
; SGPRBlocks: 2
; VGPRBlocks: 1
; NumSGPRsForWavesPerEU: 21
; NumVGPRsForWavesPerEU: 12
; AccumOffset: 12
; Occupancy: 8
; WaveLimiterHint : 0
; COMPUTE_PGM_RSRC2:SCRATCH_EN: 0
; COMPUTE_PGM_RSRC2:USER_SGPR: 6
; COMPUTE_PGM_RSRC2:TRAP_HANDLER: 0
; COMPUTE_PGM_RSRC2:TGID_X_EN: 1
; COMPUTE_PGM_RSRC2:TGID_Y_EN: 1
; COMPUTE_PGM_RSRC2:TGID_Z_EN: 0
; COMPUTE_PGM_RSRC2:TIDIG_COMP_CNT: 0
; COMPUTE_PGM_RSRC3_GFX90A:ACCUM_OFFSET: 2
; COMPUTE_PGM_RSRC3_GFX90A:TG_SPLIT: 0
	.section	.text._ZN4vllm33apply_repetition_penalties_kernelIN3c108BFloat16EEEvPT_PKbS6_PKS3_iii,"axG",@progbits,_ZN4vllm33apply_repetition_penalties_kernelIN3c108BFloat16EEEvPT_PKbS6_PKS3_iii,comdat
	.protected	_ZN4vllm33apply_repetition_penalties_kernelIN3c108BFloat16EEEvPT_PKbS6_PKS3_iii ; -- Begin function _ZN4vllm33apply_repetition_penalties_kernelIN3c108BFloat16EEEvPT_PKbS6_PKS3_iii
	.globl	_ZN4vllm33apply_repetition_penalties_kernelIN3c108BFloat16EEEvPT_PKbS6_PKS3_iii
	.p2align	8
	.type	_ZN4vllm33apply_repetition_penalties_kernelIN3c108BFloat16EEEvPT_PKbS6_PKS3_iii,@function
_ZN4vllm33apply_repetition_penalties_kernelIN3c108BFloat16EEEvPT_PKbS6_PKS3_iii: ; @_ZN4vllm33apply_repetition_penalties_kernelIN3c108BFloat16EEEvPT_PKbS6_PKS3_iii
; %bb.0:
	s_load_dwordx4 s[0:3], s[4:5], 0x20
	s_waitcnt lgkmcnt(0)
	s_cmp_ge_i32 s6, s0
	s_cbranch_scc1 .LBB2_12
; %bb.1:
	s_mul_i32 s0, s7, s2
	s_add_i32 s2, s0, s2
	s_min_i32 s16, s2, s1
	v_add_u32_e32 v2, s0, v0
	v_cmp_gt_i32_e32 vcc, s16, v2
	s_and_saveexec_b64 s[2:3], vcc
	s_cbranch_execz .LBB2_12
; %bb.2:
	s_load_dwordx8 s[8:15], s[4:5], 0x0
	s_ashr_i32 s7, s6, 31
	s_lshl_b64 s[2:3], s[6:7], 1
	v_mov_b32_e32 v0, 0
	s_movk_i32 s7, 0x7fff
	s_waitcnt lgkmcnt(0)
	s_add_u32 s2, s14, s2
	s_addc_u32 s3, s15, s3
	global_load_ushort v0, v0, s[2:3]
	s_load_dword s3, s[4:5], 0x3c
	s_mul_hi_i32 s2, s1, s6
	s_mul_i32 s6, s1, s6
	s_mov_b64 s[0:1], 0
	v_mov_b32_e32 v3, s2
	v_mov_b32_e32 v4, s11
	s_waitcnt lgkmcnt(0)
	s_and_b32 s11, s3, 0xffff
	v_mov_b32_e32 v6, 0x7fc0
	s_waitcnt vmcnt(0)
	v_lshlrev_b32_e32 v5, 16, v0
	s_branch .LBB2_5
.LBB2_3:                                ;   in Loop: Header=BB2_5 Depth=1
	s_or_b64 exec, exec, s[4:5]
	v_bfe_u32 v7, v8, 16, 1
	v_add3_u32 v7, v8, v7, s7
	v_lshrrev_b32_e32 v7, 16, v7
	v_cmp_o_f32_e32 vcc, v8, v8
	v_cndmask_b32_e32 v7, v6, v7, vcc
	global_store_short v[0:1], v7, off
.LBB2_4:                                ;   in Loop: Header=BB2_5 Depth=1
	s_or_b64 exec, exec, s[2:3]
	v_add_u32_e32 v2, s11, v2
	v_cmp_le_i32_e32 vcc, s16, v2
	s_or_b64 s[0:1], vcc, s[0:1]
	s_andn2_b64 exec, exec, s[0:1]
	s_cbranch_execz .LBB2_12
.LBB2_5:                                ; =>This Inner Loop Header: Depth=1
	v_ashrrev_i32_e32 v1, 31, v2
	v_add_co_u32_e32 v0, vcc, s6, v2
	v_addc_co_u32_e32 v1, vcc, v3, v1, vcc
	v_add_co_u32_e32 v8, vcc, s10, v0
	v_addc_co_u32_e32 v9, vcc, v4, v1, vcc
	global_load_ubyte v7, v[8:9], off
	s_mov_b64 s[4:5], -1
	s_waitcnt vmcnt(0)
	v_and_b32_e32 v7, 1, v7
	v_cmp_eq_u32_e32 vcc, 1, v7
	s_xor_b64 s[14:15], vcc, -1
	s_and_saveexec_b64 s[2:3], s[14:15]
	s_cbranch_execz .LBB2_7
; %bb.6:                                ;   in Loop: Header=BB2_5 Depth=1
	v_mov_b32_e32 v7, s13
	v_add_co_u32_e32 v8, vcc, s12, v0
	v_addc_co_u32_e32 v9, vcc, v7, v1, vcc
	global_load_ubyte v7, v[8:9], off
	s_waitcnt vmcnt(0)
	v_and_b32_e32 v7, 1, v7
	v_cmp_eq_u32_e32 vcc, 1, v7
	s_orn2_b64 s[4:5], vcc, exec
.LBB2_7:                                ;   in Loop: Header=BB2_5 Depth=1
	s_or_b64 exec, exec, s[2:3]
	s_and_saveexec_b64 s[2:3], s[4:5]
	s_cbranch_execz .LBB2_4
; %bb.8:                                ;   in Loop: Header=BB2_5 Depth=1
	v_lshlrev_b64 v[0:1], 1, v[0:1]
	v_mov_b32_e32 v7, s9
	v_add_co_u32_e32 v0, vcc, s8, v0
	v_addc_co_u32_e32 v1, vcc, v7, v1, vcc
	global_load_ushort v7, v[0:1], off
                                        ; implicit-def: $vgpr8
	s_waitcnt vmcnt(0)
	v_lshlrev_b32_e32 v7, 16, v7
	v_cmp_nlt_f32_e32 vcc, 0, v7
	s_and_saveexec_b64 s[4:5], vcc
	s_xor_b64 s[4:5], exec, s[4:5]
; %bb.9:                                ;   in Loop: Header=BB2_5 Depth=1
	v_mul_f32_e32 v8, v5, v7
                                        ; implicit-def: $vgpr7
; %bb.10:                               ;   in Loop: Header=BB2_5 Depth=1
	s_andn2_saveexec_b64 s[4:5], s[4:5]
	s_cbranch_execz .LBB2_3
; %bb.11:                               ;   in Loop: Header=BB2_5 Depth=1
	v_div_scale_f32 v8, s[14:15], v5, v5, v7
	v_rcp_f32_e32 v9, v8
	v_div_scale_f32 v10, vcc, v7, v5, v7
	v_fma_f32 v11, -v8, v9, 1.0
	v_fmac_f32_e32 v9, v11, v9
	v_mul_f32_e32 v11, v10, v9
	v_fma_f32 v12, -v8, v11, v10
	v_fmac_f32_e32 v11, v12, v9
	v_fma_f32 v8, -v8, v11, v10
	v_div_fmas_f32 v8, v8, v9, v11
	v_div_fixup_f32 v8, v8, v5, v7
	s_branch .LBB2_3
.LBB2_12:
	s_endpgm
	.section	.rodata,"a",@progbits
	.p2align	6, 0x0
	.amdhsa_kernel _ZN4vllm33apply_repetition_penalties_kernelIN3c108BFloat16EEEvPT_PKbS6_PKS3_iii
		.amdhsa_group_segment_fixed_size 0
		.amdhsa_private_segment_fixed_size 0
		.amdhsa_kernarg_size 304
		.amdhsa_user_sgpr_count 6
		.amdhsa_user_sgpr_private_segment_buffer 1
		.amdhsa_user_sgpr_dispatch_ptr 0
		.amdhsa_user_sgpr_queue_ptr 0
		.amdhsa_user_sgpr_kernarg_segment_ptr 1
		.amdhsa_user_sgpr_dispatch_id 0
		.amdhsa_user_sgpr_flat_scratch_init 0
		.amdhsa_user_sgpr_kernarg_preload_length 0
		.amdhsa_user_sgpr_kernarg_preload_offset 0
		.amdhsa_user_sgpr_private_segment_size 0
		.amdhsa_uses_dynamic_stack 0
		.amdhsa_system_sgpr_private_segment_wavefront_offset 0
		.amdhsa_system_sgpr_workgroup_id_x 1
		.amdhsa_system_sgpr_workgroup_id_y 1
		.amdhsa_system_sgpr_workgroup_id_z 0
		.amdhsa_system_sgpr_workgroup_info 0
		.amdhsa_system_vgpr_workitem_id 0
		.amdhsa_next_free_vgpr 13
		.amdhsa_next_free_sgpr 17
		.amdhsa_accum_offset 16
		.amdhsa_reserve_vcc 1
		.amdhsa_reserve_flat_scratch 0
		.amdhsa_float_round_mode_32 0
		.amdhsa_float_round_mode_16_64 0
		.amdhsa_float_denorm_mode_32 3
		.amdhsa_float_denorm_mode_16_64 3
		.amdhsa_dx10_clamp 1
		.amdhsa_ieee_mode 1
		.amdhsa_fp16_overflow 0
		.amdhsa_tg_split 0
		.amdhsa_exception_fp_ieee_invalid_op 0
		.amdhsa_exception_fp_denorm_src 0
		.amdhsa_exception_fp_ieee_div_zero 0
		.amdhsa_exception_fp_ieee_overflow 0
		.amdhsa_exception_fp_ieee_underflow 0
		.amdhsa_exception_fp_ieee_inexact 0
		.amdhsa_exception_int_div_zero 0
	.end_amdhsa_kernel
	.section	.text._ZN4vllm33apply_repetition_penalties_kernelIN3c108BFloat16EEEvPT_PKbS6_PKS3_iii,"axG",@progbits,_ZN4vllm33apply_repetition_penalties_kernelIN3c108BFloat16EEEvPT_PKbS6_PKS3_iii,comdat
.Lfunc_end2:
	.size	_ZN4vllm33apply_repetition_penalties_kernelIN3c108BFloat16EEEvPT_PKbS6_PKS3_iii, .Lfunc_end2-_ZN4vllm33apply_repetition_penalties_kernelIN3c108BFloat16EEEvPT_PKbS6_PKS3_iii
                                        ; -- End function
	.section	.AMDGPU.csdata,"",@progbits
; Kernel info:
; codeLenInByte = 460
; NumSgprs: 21
; NumVgprs: 13
; NumAgprs: 0
; TotalNumVgprs: 13
; ScratchSize: 0
; MemoryBound: 0
; FloatMode: 240
; IeeeMode: 1
; LDSByteSize: 0 bytes/workgroup (compile time only)
; SGPRBlocks: 2
; VGPRBlocks: 1
; NumSGPRsForWavesPerEU: 21
; NumVGPRsForWavesPerEU: 13
; AccumOffset: 16
; Occupancy: 8
; WaveLimiterHint : 0
; COMPUTE_PGM_RSRC2:SCRATCH_EN: 0
; COMPUTE_PGM_RSRC2:USER_SGPR: 6
; COMPUTE_PGM_RSRC2:TRAP_HANDLER: 0
; COMPUTE_PGM_RSRC2:TGID_X_EN: 1
; COMPUTE_PGM_RSRC2:TGID_Y_EN: 1
; COMPUTE_PGM_RSRC2:TGID_Z_EN: 0
; COMPUTE_PGM_RSRC2:TIDIG_COMP_CNT: 0
; COMPUTE_PGM_RSRC3_GFX90A:ACCUM_OFFSET: 3
; COMPUTE_PGM_RSRC3_GFX90A:TG_SPLIT: 0
	.text
	.p2align	2                               ; -- Begin function _ZN4vllmL13topKPerRowJobILi512ELi2048ELb0ELb0ELb0EEEvPKiPKfiiPiPfii
	.type	_ZN4vllmL13topKPerRowJobILi512ELi2048ELb0ELb0ELb0EEEvPKiPKfiiPiPfii,@function
_ZN4vllmL13topKPerRowJobILi512ELi2048ELb0ELb0ELb0EEEvPKiPKfiiPiPfii: ; @_ZN4vllmL13topKPerRowJobILi512ELi2048ELb0ELb0ELb0EEEvPKiPKfiiPiPfii
; %bb.0:
	s_waitcnt vmcnt(0) expcnt(0) lgkmcnt(0)
	s_xor_saveexec_b64 s[4:5], -1
	buffer_store_dword v36, off, s[0:3], s32 ; 4-byte Folded Spill
	s_mov_b64 exec, s[4:5]
	v_writelane_b32 v36, s34, 0
	v_writelane_b32 v36, s35, 1
	;; [unrolled: 1-line block ×23, first 2 shown]
	v_mov_b32_e32 v8, v3
	v_sub_u32_e32 v22, v8, v2
	s_mov_b32 s34, s15
	v_cmp_le_i32_e32 vcc, v22, v7
	v_and_b32_e32 v14, 0x3ff, v31
	s_and_saveexec_b64 s[4:5], vcc
	s_xor_b64 s[6:7], exec, s[4:5]
	s_cbranch_execz .LBB3_18
; %bb.1:
	v_cmp_lt_i32_e32 vcc, v14, v22
	s_and_saveexec_b64 s[10:11], vcc
	s_cbranch_execz .LBB3_9
; %bb.2:
	v_xad_u32 v0, v14, -1, v8
	v_sub_u32_e32 v1, v0, v2
	s_movk_i32 s4, 0x5ff
	v_cmp_lt_u32_e32 vcc, s4, v1
	s_mov_b64 s[4:5], -1
	v_mov_b32_e32 v0, v14
	s_and_saveexec_b64 s[16:17], vcc
	s_cbranch_execz .LBB3_6
; %bb.3:
	v_lshrrev_b32_e32 v0, 9, v1
	v_add_u32_e32 v3, 1, v0
	v_and_b32_e32 v6, 0xfffffc, v3
	v_add_u32_e32 v15, 0x200, v14
	s_mov_b64 s[18:19], 0
	v_mov_b32_e32 v1, 0
	v_mov_b32_e32 v9, v6
	;; [unrolled: 1-line block ×3, first 2 shown]
	v_pk_mov_b32 v[10:11], v[14:15], v[14:15] op_sel:[0,1]
.LBB3_4:                                ; =>This Inner Loop Header: Depth=1
	v_mov_b32_e32 v0, v10
	v_lshlrev_b64 v[20:21], 2, v[0:1]
	v_add_u32_e32 v18, 0x400, v10
	v_mov_b32_e32 v19, v1
	v_add_co_u32_e64 v20, s[4:5], v4, v20
	v_add_u32_e32 v9, -4, v9
	v_mov_b32_e32 v0, v11
	v_lshlrev_b64 v[18:19], 2, v[18:19]
	v_addc_co_u32_e64 v21, s[4:5], v5, v21, s[4:5]
	v_add_u32_e32 v16, 0x400, v11
	v_mov_b32_e32 v17, v1
	v_cmp_eq_u32_e32 vcc, 0, v9
	v_lshlrev_b64 v[24:25], 2, v[0:1]
	v_add_co_u32_e64 v18, s[4:5], v4, v18
	v_lshlrev_b64 v[16:17], 2, v[16:17]
	v_addc_co_u32_e64 v19, s[4:5], v5, v19, s[4:5]
	s_or_b64 s[18:19], vcc, s[18:19]
	v_add_co_u32_e32 v24, vcc, v4, v24
	v_add_u32_e32 v13, 0x200, v12
	v_add_u32_e32 v15, 0x400, v12
	;; [unrolled: 1-line block ×5, first 2 shown]
	v_add_co_u32_e64 v16, s[4:5], v4, v16
	v_addc_co_u32_e32 v25, vcc, v5, v25, vcc
	flat_store_dword v[20:21], v12
	v_add_u32_e32 v12, 0x800, v12
	v_addc_co_u32_e64 v17, s[4:5], v5, v17, s[4:5]
	flat_store_dword v[24:25], v13
	flat_store_dword v[18:19], v15
	;; [unrolled: 1-line block ×3, first 2 shown]
	s_andn2_b64 exec, exec, s[18:19]
	s_cbranch_execnz .LBB3_4
; %bb.5:
	s_or_b64 exec, exec, s[18:19]
	v_cmp_ne_u32_e32 vcc, v3, v6
	v_lshl_or_b32 v0, v6, 9, v14
	s_orn2_b64 s[4:5], vcc, exec
.LBB3_6:
	s_or_b64 exec, exec, s[16:17]
	s_and_b64 exec, exec, s[4:5]
	s_cbranch_execz .LBB3_9
; %bb.7:
	v_mov_b32_e32 v1, 0
	v_lshlrev_b64 v[10:11], 2, v[0:1]
	v_add_co_u32_e32 v10, vcc, v4, v10
	v_addc_co_u32_e32 v11, vcc, v5, v11, vcc
	s_mov_b64 s[16:17], 0
.LBB3_8:                                ; =>This Inner Loop Header: Depth=1
	flat_store_dword v[10:11], v0
	v_add_u32_e32 v0, 0x200, v0
	v_add_co_u32_e32 v10, vcc, 0x800, v10
	v_cmp_ge_i32_e64 s[4:5], v0, v22
	s_or_b64 s[16:17], s[4:5], s[16:17]
	v_addc_co_u32_e32 v11, vcc, 0, v11, vcc
	s_andn2_b64 exec, exec, s[16:17]
	s_cbranch_execnz .LBB3_8
.LBB3_9:
	s_or_b64 exec, exec, s[10:11]
	v_add_u32_e32 v0, v22, v14
	v_cmp_lt_i32_e32 vcc, v0, v7
	s_and_saveexec_b64 s[10:11], vcc
	s_cbranch_execz .LBB3_17
; %bb.10:
	v_add_u32_e32 v1, v14, v8
	v_sub_u32_e32 v1, v1, v2
	v_add_u32_e32 v1, 0x200, v1
	v_max_i32_e32 v1, v7, v1
	v_not_b32_e32 v3, v14
	v_add3_u32 v1, v1, v2, v3
	v_sub_u32_e32 v1, v1, v8
	s_movk_i32 s4, 0x5ff
	v_cmp_lt_u32_e32 vcc, s4, v1
	s_mov_b64 s[4:5], -1
	s_and_saveexec_b64 s[16:17], vcc
	s_cbranch_execz .LBB3_14
; %bb.11:
	v_lshrrev_b32_e32 v1, 9, v1
	v_add_u32_e32 v6, 1, v1
	v_and_b32_e32 v8, 0xfffffc, v6
	v_add_u32_e32 v1, 0x200, v0
	s_mov_b64 s[18:19], 0
	v_mov_b32_e32 v9, -1
	v_mov_b32_e32 v10, v8
	v_pk_mov_b32 v[2:3], v[0:1], v[0:1] op_sel:[0,1]
.LBB3_12:                               ; =>This Inner Loop Header: Depth=1
	v_add_u32_e32 v12, 0x400, v2
	v_ashrrev_i32_e32 v19, 31, v2
	v_mov_b32_e32 v18, v2
	v_add_u32_e32 v10, -4, v10
	v_ashrrev_i32_e32 v13, 31, v12
	v_add_u32_e32 v14, 0x400, v3
	v_lshlrev_b64 v[18:19], 2, v[18:19]
	v_cmp_eq_u32_e32 vcc, 0, v10
	v_lshlrev_b64 v[12:13], 2, v[12:13]
	v_ashrrev_i32_e32 v17, 31, v3
	v_mov_b32_e32 v16, v3
	v_ashrrev_i32_e32 v15, 31, v14
	v_add_co_u32_e64 v18, s[4:5], v4, v18
	s_or_b64 s[18:19], vcc, s[18:19]
	v_add_co_u32_e32 v12, vcc, v4, v12
	v_lshlrev_b64 v[16:17], 2, v[16:17]
	v_addc_co_u32_e64 v19, s[4:5], v5, v19, s[4:5]
	v_lshlrev_b64 v[14:15], 2, v[14:15]
	v_addc_co_u32_e32 v13, vcc, v5, v13, vcc
	v_add_u32_e32 v3, 0x800, v3
	v_add_u32_e32 v2, 0x800, v2
	v_add_co_u32_e64 v16, s[4:5], v4, v16
	v_add_co_u32_e32 v14, vcc, v4, v14
	v_addc_co_u32_e64 v17, s[4:5], v5, v17, s[4:5]
	v_addc_co_u32_e32 v15, vcc, v5, v15, vcc
	flat_store_dword v[18:19], v9
	flat_store_dword v[16:17], v9
	;; [unrolled: 1-line block ×4, first 2 shown]
	s_andn2_b64 exec, exec, s[18:19]
	s_cbranch_execnz .LBB3_12
; %bb.13:
	s_or_b64 exec, exec, s[18:19]
	v_cmp_ne_u32_e32 vcc, v6, v8
	v_lshl_add_u32 v0, v8, 9, v0
	s_orn2_b64 s[4:5], vcc, exec
.LBB3_14:
	s_or_b64 exec, exec, s[16:17]
	s_and_b64 exec, exec, s[4:5]
	s_cbranch_execz .LBB3_17
; %bb.15:
	v_ashrrev_i32_e32 v1, 31, v0
	v_lshlrev_b64 v[2:3], 2, v[0:1]
	v_add_co_u32_e32 v2, vcc, v4, v2
	v_addc_co_u32_e32 v3, vcc, v5, v3, vcc
	s_mov_b64 s[16:17], 0
	v_mov_b32_e32 v1, -1
.LBB3_16:                               ; =>This Inner Loop Header: Depth=1
	v_add_u32_e32 v0, 0x200, v0
	flat_store_dword v[2:3], v1
	v_add_co_u32_e32 v2, vcc, 0x800, v2
	v_cmp_ge_i32_e64 s[4:5], v0, v7
	s_or_b64 s[16:17], s[4:5], s[16:17]
	v_addc_co_u32_e32 v3, vcc, 0, v3, vcc
	s_andn2_b64 exec, exec, s[16:17]
	s_cbranch_execnz .LBB3_16
.LBB3_17:
	s_or_b64 exec, exec, s[10:11]
                                        ; implicit-def: $vgpr22
                                        ; implicit-def: $vgpr14
                                        ; implicit-def: $vgpr0
                                        ; implicit-def: $vgpr1
                                        ; implicit-def: $vgpr2
                                        ; implicit-def: $vgpr8
                                        ; implicit-def: $vgpr4
                                        ; implicit-def: $vgpr5
                                        ; implicit-def: $vgpr6
                                        ; implicit-def: $vgpr7
                                        ; implicit-def: $vgpr31
.LBB3_18:
	s_andn2_saveexec_b64 s[36:37], s[6:7]
	s_cbranch_execz .LBB3_722
; %bb.19:
	v_cmp_ne_u32_e64 s[22:23], 0, v14
	v_cmp_eq_u32_e64 s[10:11], 0, v14
	s_and_saveexec_b64 s[4:5], s[10:11]
	s_cbranch_execz .LBB3_21
; %bb.20:
	s_mov_b32 s6, 0x8000
	v_mov_b32_e32 v3, 0
	v_add_u32_e64 v9, s6, 0
	ds_write2_b32 v9, v3, v3 offset0:64 offset1:66
.LBB3_21:
	s_or_b64 exec, exec, s[4:5]
	v_lshrrev_b32_e32 v3, 9, v14
	v_xor_b32_e32 v9, 3, v3
	v_lshlrev_b32_e32 v15, 2, v14
	v_add_u32_e32 v24, 0x840, v15
	v_mov_b32_e32 v3, 0
	v_add_u32_e32 v10, 64, v15
	v_cmp_lt_u32_e64 s[18:19], 2, v9
	v_cmp_lt_u32_e64 s[20:21], 1, v9
	s_waitcnt lgkmcnt(0)
	s_barrier
	ds_write2st64_b32 v10, v3, v3 offset0:8 offset1:16
	s_and_saveexec_b64 s[4:5], s[20:21]
	s_cbranch_execz .LBB3_23
; %bb.22:
	ds_write_b32 v24, v3 offset:4096
.LBB3_23:
	s_or_b64 exec, exec, s[4:5]
	s_and_saveexec_b64 s[4:5], s[18:19]
	s_cbranch_execz .LBB3_25
; %bb.24:
	v_mov_b32_e32 v3, 0
	ds_write_b32 v24, v3 offset:6144
.LBB3_25:
	s_or_b64 exec, exec, s[4:5]
	v_cmp_eq_u32_e64 s[4:5], 1, v6
	v_cmp_ne_u32_e64 s[6:7], 1, v6
	v_add_u32_e32 v23, v14, v2
	s_waitcnt lgkmcnt(0)
	s_barrier
	s_and_saveexec_b64 s[16:17], s[6:7]
	s_xor_b64 s[16:17], exec, s[16:17]
	s_cbranch_execz .LBB3_30
; %bb.26:
	v_add_u32_e32 v3, v14, v2
	v_cmp_lt_i32_e32 vcc, v3, v8
	s_and_saveexec_b64 s[24:25], vcc
	s_cbranch_execz .LBB3_29
; %bb.27:
	v_mul_lo_u32 v10, v6, v3
	v_lshlrev_b32_e32 v9, 9, v6
	s_mov_b64 s[26:27], 0
	v_mov_b32_e32 v12, 1
.LBB3_28:                               ; =>This Inner Loop Header: Depth=1
	v_ashrrev_i32_e32 v11, 31, v10
	v_lshlrev_b64 v[16:17], 2, v[10:11]
	v_add_co_u32_e32 v16, vcc, v0, v16
	v_addc_co_u32_e32 v17, vcc, v1, v17, vcc
	flat_load_dword v11, v[16:17]
	v_add_u32_e32 v3, 0x200, v3
	v_add_u32_e32 v10, v10, v9
	s_waitcnt vmcnt(0) lgkmcnt(0)
	v_cvt_f16_f32_e32 v11, v11
	v_xor_b32_e32 v13, -1, v11
	v_and_b32_e32 v13, 0x7fe0, v13
	v_cmp_gt_i16_e32 vcc, 0, v11
	v_cndmask_b32_e32 v11, v13, v11, vcc
	v_lshrrev_b16_e32 v11, 5, v11
	v_lshlrev_b32_e32 v11, 2, v11
	ds_add_u32 v11, v12 offset:2112
	v_cmp_ge_i32_e32 vcc, v3, v8
	s_or_b64 s[26:27], vcc, s[26:27]
	s_andn2_b64 exec, exec, s[26:27]
	s_cbranch_execnz .LBB3_28
.LBB3_29:
	s_or_b64 exec, exec, s[24:25]
.LBB3_30:
	s_or_saveexec_b64 s[38:39], s[16:17]
	v_ashrrev_i32_e32 v3, 31, v2
	s_xor_b64 exec, exec, s[38:39]
	s_cbranch_execz .LBB3_39
; %bb.31:
	v_lshlrev_b64 v[12:13], 2, v[2:3]
	v_add_co_u32_e32 v9, vcc, v0, v12
	v_and_b32_e32 v10, 15, v9
	v_addc_co_u32_e32 v16, vcc, v1, v13, vcc
	v_mov_b32_e32 v11, 0
	v_sub_u32_e32 v17, 16, v10
	v_lshrrev_b32_e32 v17, 2, v17
	v_cmp_ne_u64_e32 vcc, 0, v[10:11]
	v_cndmask_b32_e32 v10, 0, v17, vcc
	v_min_i32_e32 v10, v10, v22
	v_sub_u32_e32 v17, v22, v10
	v_ashrrev_i32_e32 v18, 31, v17
	v_lshrrev_b32_e32 v18, 30, v18
	v_add_u32_e32 v17, v17, v18
	v_ashrrev_i32_e32 v17, 2, v17
	s_mov_b64 s[40:41], 0
	v_ashrrev_i32_e32 v11, 31, v10
	v_cmp_gt_i32_e32 vcc, v17, v14
	s_and_saveexec_b64 s[42:43], vcc
	s_cbranch_execz .LBB3_34
; %bb.32:
	v_lshlrev_b32_e32 v20, 4, v14
	v_lshlrev_b64 v[18:19], 2, v[10:11]
	v_add_co_u32_e32 v11, vcc, v20, v18
	v_addc_co_u32_e32 v18, vcc, 0, v19, vcc
	v_add_co_u32_e32 v11, vcc, v11, v12
	v_addc_co_u32_e32 v13, vcc, v18, v13, vcc
	v_add_co_u32_e32 v12, vcc, v0, v11
	v_addc_co_u32_e32 v13, vcc, v1, v13, vcc
	v_mov_b32_e32 v11, 1
	v_mov_b32_e32 v18, v14
.LBB3_33:                               ; =>This Inner Loop Header: Depth=1
	flat_load_dwordx4 v[26:29], v[12:13]
	v_add_u32_e32 v18, 0x200, v18
	v_add_co_u32_e32 v12, vcc, 0x2000, v12
	v_cmp_ge_i32_e64 s[16:17], v18, v17
	s_or_b64 s[40:41], s[16:17], s[40:41]
	v_addc_co_u32_e32 v13, vcc, 0, v13, vcc
	s_waitcnt vmcnt(0) lgkmcnt(0)
	v_cvt_f16_f32_e32 v19, v26
	v_cvt_f16_f32_e32 v20, v27
	;; [unrolled: 1-line block ×4, first 2 shown]
	v_xor_b32_e32 v26, -1, v19
	v_xor_b32_e32 v27, -1, v20
	;; [unrolled: 1-line block ×4, first 2 shown]
	v_and_b32_e32 v26, 0x7fe0, v26
	v_cmp_gt_i16_e64 s[30:31], 0, v19
	v_and_b32_e32 v27, 0x7fe0, v27
	v_cmp_gt_i16_e64 s[24:25], 0, v20
	;; [unrolled: 2-line block ×4, first 2 shown]
	v_cndmask_b32_e64 v19, v26, v19, s[30:31]
	v_cndmask_b32_e64 v20, v27, v20, s[24:25]
	;; [unrolled: 1-line block ×4, first 2 shown]
	v_lshrrev_b16_e32 v19, 5, v19
	v_lshrrev_b16_e32 v20, 5, v20
	;; [unrolled: 1-line block ×4, first 2 shown]
	v_lshlrev_b32_e32 v19, 2, v19
	v_lshlrev_b32_e32 v20, 2, v20
	;; [unrolled: 1-line block ×4, first 2 shown]
	ds_add_u32 v19, v11 offset:2112
	ds_add_u32 v20, v11 offset:2112
	;; [unrolled: 1-line block ×4, first 2 shown]
	s_andn2_b64 exec, exec, s[40:41]
	s_cbranch_execnz .LBB3_33
.LBB3_34:
	s_or_b64 exec, exec, s[42:43]
	v_cmp_gt_u32_e32 vcc, v10, v14
	s_and_saveexec_b64 s[16:17], vcc
	s_cbranch_execz .LBB3_36
; %bb.35:
	v_add_co_u32_e32 v12, vcc, v9, v15
	v_addc_co_u32_e32 v13, vcc, 0, v16, vcc
	flat_load_dword v11, v[12:13]
	s_waitcnt vmcnt(0) lgkmcnt(0)
	v_cvt_f16_f32_e32 v11, v11
	v_xor_b32_e32 v12, -1, v11
	v_and_b32_e32 v12, 0x7fe0, v12
	v_cmp_gt_i16_e32 vcc, 0, v11
	v_cndmask_b32_e32 v11, v12, v11, vcc
	v_lshrrev_b16_e32 v11, 5, v11
	v_lshlrev_b32_e32 v11, 2, v11
	v_mov_b32_e32 v12, 1
	ds_add_u32 v11, v12 offset:2112
.LBB3_36:
	s_or_b64 exec, exec, s[16:17]
	v_lshlrev_b32_e32 v11, 2, v17
	v_add3_u32 v10, v10, v14, v11
	v_cmp_lt_i32_e32 vcc, v10, v22
	s_and_saveexec_b64 s[16:17], vcc
	s_cbranch_execz .LBB3_38
; %bb.37:
	v_ashrrev_i32_e32 v11, 31, v10
	v_lshlrev_b64 v[10:11], 2, v[10:11]
	v_add_co_u32_e32 v10, vcc, v9, v10
	v_addc_co_u32_e32 v11, vcc, v16, v11, vcc
	flat_load_dword v9, v[10:11]
	s_waitcnt vmcnt(0) lgkmcnt(0)
	v_cvt_f16_f32_e32 v9, v9
	v_xor_b32_e32 v10, -1, v9
	v_and_b32_e32 v10, 0x7fe0, v10
	v_cmp_gt_i16_e32 vcc, 0, v9
	v_cndmask_b32_e32 v9, v10, v9, vcc
	v_lshrrev_b16_e32 v9, 5, v9
	v_lshlrev_b32_e32 v9, 2, v9
	v_mov_b32_e32 v10, 1
	ds_add_u32 v9, v10 offset:2112
.LBB3_38:
	s_or_b64 exec, exec, s[16:17]
.LBB3_39:
	s_or_b64 exec, exec, s[38:39]
	s_waitcnt lgkmcnt(0)
	s_barrier
	s_load_dwordx2 s[16:17], s[8:9], 0x0
	s_load_dword s15, s[8:9], 0x8
	v_mov_b32_e32 v9, 0
	v_lshrrev_b32_e32 v17, 3, v14
	v_lshlrev_b32_e32 v18, 3, v14
	s_waitcnt lgkmcnt(0)
	s_cmp_lt_u32 s13, s17
	s_cselect_b32 s13, 14, 20
	s_cmp_lt_u32 s14, s15
	s_cselect_b32 s14, 16, 22
	s_add_u32 s14, s8, s14
	s_addc_u32 s15, s9, 0
	s_add_u32 s24, s8, s13
	s_addc_u32 s25, s9, 0
	s_cmp_lt_u32 s12, s16
	s_cselect_b32 s12, 12, 18
	s_add_u32 s8, s8, s12
	s_addc_u32 s9, s9, 0
	global_load_ushort v13, v9, s[14:15]
	global_load_ushort v10, v9, s[24:25]
	global_load_ushort v16, v9, s[8:9]
	ds_read_b32 v11, v9 offset:33032
	ds_read_b32 v12, v15 offset:2112
	v_lshrrev_b32_e32 v19, 2, v14
	v_and_b32_e32 v17, 0x7c, v17
	v_cmp_gt_u32_e64 s[12:13], 64, v14
	v_add_lshl_u32 v25, v19, v18, 2
	v_add_u32_e32 v27, v15, v17
	s_waitcnt lgkmcnt(0)
	s_barrier
	ds_write_b32 v27, v12
	s_waitcnt lgkmcnt(0)
	s_barrier
	s_waitcnt vmcnt(0)
	v_readfirstlane_b32 s25, v13
	v_readfirstlane_b32 s24, v10
	;; [unrolled: 1-line block ×3, first 2 shown]
	s_and_saveexec_b64 s[8:9], s[12:13]
	s_cbranch_execz .LBB3_41
; %bb.40:
	ds_read2_b32 v[16:17], v25 offset1:1
	ds_read2_b32 v[18:19], v25 offset0:2 offset1:3
	ds_read2_b32 v[20:21], v25 offset0:4 offset1:5
	;; [unrolled: 1-line block ×3, first 2 shown]
	v_mbcnt_lo_u32_b32 v13, -1, 0
	s_waitcnt lgkmcnt(3)
	v_add_u32_e32 v26, v17, v16
	s_waitcnt lgkmcnt(2)
	v_add3_u32 v26, v26, v18, v19
	s_waitcnt lgkmcnt(1)
	v_add3_u32 v26, v26, v20, v21
	v_mbcnt_hi_u32_b32 v13, -1, v13
	s_waitcnt lgkmcnt(0)
	v_add3_u32 v26, v26, v28, v29
	v_and_b32_e32 v30, 15, v13
	v_cmp_ne_u32_e32 vcc, 0, v30
	v_mov_b32_dpp v32, v26 row_shr:1 row_mask:0xf bank_mask:0xf
	v_cndmask_b32_e32 v32, 0, v32, vcc
	v_add_u32_e32 v26, v32, v26
	v_cmp_lt_u32_e32 vcc, 1, v30
	s_nop 0
	v_mov_b32_dpp v32, v26 row_shr:2 row_mask:0xf bank_mask:0xf
	v_cndmask_b32_e32 v32, 0, v32, vcc
	v_add_u32_e32 v26, v26, v32
	v_cmp_lt_u32_e32 vcc, 3, v30
	s_nop 0
	;; [unrolled: 5-line block ×3, first 2 shown]
	v_mov_b32_dpp v32, v26 row_shr:8 row_mask:0xf bank_mask:0xf
	v_cndmask_b32_e32 v30, 0, v32, vcc
	v_add_u32_e32 v26, v26, v30
	v_bfe_i32 v32, v13, 4, 1
	v_cmp_lt_u32_e32 vcc, 31, v13
	v_mov_b32_dpp v30, v26 row_bcast:15 row_mask:0xf bank_mask:0xf
	v_and_b32_e32 v30, v32, v30
	v_add_u32_e32 v26, v26, v30
	v_and_b32_e32 v32, 64, v13
	s_nop 0
	v_mov_b32_dpp v30, v26 row_bcast:31 row_mask:0xf bank_mask:0xf
	v_cndmask_b32_e32 v30, 0, v30, vcc
	v_add_u32_e32 v26, v26, v30
	v_add_u32_e32 v30, -1, v13
	v_cmp_lt_i32_e32 vcc, v30, v32
	v_cndmask_b32_e32 v13, v30, v13, vcc
	v_lshlrev_b32_e32 v13, 2, v13
	ds_bpermute_b32 v13, v13, v26
	s_waitcnt lgkmcnt(0)
	v_add_u32_e32 v13, v13, v16
	v_cndmask_b32_e64 v12, v13, v12, s[10:11]
	v_add_u32_e32 v13, v12, v17
	ds_write2_b32 v25, v12, v13 offset1:1
	v_add_u32_e32 v12, v13, v18
	v_add_u32_e32 v13, v12, v19
	ds_write2_b32 v25, v12, v13 offset0:2 offset1:3
	v_add_u32_e32 v12, v13, v20
	v_add_u32_e32 v13, v12, v21
	ds_write2_b32 v25, v12, v13 offset0:4 offset1:5
	;; [unrolled: 3-line block ×3, first 2 shown]
.LBB3_41:
	s_or_b64 exec, exec, s[8:9]
	v_add_u32_e32 v12, -1, v14
	v_lshrrev_b32_e32 v13, 5, v12
	v_add_lshl_u32 v26, v13, v12, 2
	s_waitcnt lgkmcnt(0)
	s_barrier
	s_and_saveexec_b64 s[8:9], s[22:23]
	s_cbranch_execz .LBB3_43
; %bb.42:
	ds_read_b32 v9, v26
.LBB3_43:
	s_or_b64 exec, exec, s[8:9]
	v_mov_b32_e32 v13, 0
	ds_read_b32 v17, v13 offset:2104
	s_movk_i32 s8, 0x1ff
	s_waitcnt lgkmcnt(1)
	v_add_u32_e32 v16, v9, v11
	v_bfe_u32 v12, v31, 20, 10
	v_cmp_ne_u32_e64 s[14:15], s8, v14
	s_waitcnt lgkmcnt(0)
	v_add_u32_e32 v9, v17, v11
	v_cmp_lt_i32_e32 vcc, v16, v7
	ds_write_b32 v15, v16 offset:2112
	s_waitcnt lgkmcnt(0)
	s_barrier
	s_and_saveexec_b64 s[8:9], vcc
	s_cbranch_execz .LBB3_49
; %bb.44:
	v_mov_b32_e32 v11, v9
	s_and_saveexec_b64 s[16:17], s[14:15]
	s_cbranch_execz .LBB3_46
; %bb.45:
	ds_read_b32 v11, v24 offset:4
.LBB3_46:
	s_or_b64 exec, exec, s[16:17]
	s_waitcnt lgkmcnt(0)
	v_cmp_ge_i32_e32 vcc, v11, v7
	v_mov_b32_e32 v13, 0
	s_and_saveexec_b64 s[16:17], vcc
	s_cbranch_execz .LBB3_48
; %bb.47:
	s_mov_b32 s27, 0x8000
	v_sub_u32_e32 v11, v11, v16
	v_add_u32_e64 v13, s27, 0
	ds_write2_b32 v13, v11, v14 offset0:65 offset1:67
	v_mov_b32_e32 v13, 1
.LBB3_48:
	s_or_b64 exec, exec, s[16:17]
.LBB3_49:
	s_or_b64 exec, exec, s[8:9]
	s_and_b32 s9, 0xffff, s26
	v_mul_u32_u24_e32 v10, v12, v10
	s_mul_i32 s24, s24, s9
	v_or_b32_dpp v12, v13, v13 row_shl:1 row_mask:0xf bank_mask:0xf bound_ctrl:1
	s_and_b32 s8, 0xffff, s25
	s_bfe_i32 s16, s24, 0x180000
	v_or_b32_dpp v12, v12, v12 row_shl:2 row_mask:0xf bank_mask:0xf bound_ctrl:1
	s_mul_i32 s8, s16, s8
	s_add_i32 s8, s8, 63
	v_or_b32_dpp v12, v12, v12 row_shl:4 row_mask:0xf bank_mask:0xf bound_ctrl:1
	s_andn2_b32 s8, s8, 63
	s_cmp_lg_u32 s8, 64
	v_or_b32_dpp v12, v12, v12 row_shl:8 row_mask:0xf bank_mask:0xf bound_ctrl:1
	s_cselect_b64 s[38:39], -1, 0
	s_bitcmp1_b32 exec_hi, 0
	v_mov_b32_dpp v13, v12 wave_shl:1 row_mask:0xf bank_mask:0xf bound_ctrl:1
	v_bfe_u32 v11, v31, 10, 10
	v_add_u32_e32 v10, v10, v11
	v_or_b32_dpp v12, v13, v12 row_mirror row_mask:0xf bank_mask:0xf bound_ctrl:1
	v_readlane_b32 s16, v12, 32
	s_cselect_b32 s16, s16, 0
	v_readlane_b32 s17, v12, 0
	s_or_b32 s24, s16, s17
	s_cmp_eq_u32 s8, 64
	v_mad_u64_u32 v[10:11], s[8:9], v10, s9, v[14:15]
	v_lshrrev_b32_e32 v28, 6, v10
	v_cmp_lt_u32_e64 s[16:17], 63, v10
	v_mov_b32_e32 v10, s24
	s_cbranch_scc1 .LBB3_56
; %bb.50:
	v_mbcnt_lo_u32_b32 v10, -1, 0
	v_mbcnt_hi_u32_b32 v10, -1, v10
	v_or_b32_e32 v11, v10, v28
	v_cmp_eq_u32_e32 vcc, 0, v11
	s_and_saveexec_b64 s[8:9], vcc
	s_cbranch_execz .LBB3_52
; %bb.51:
	v_mov_b32_e32 v11, 0
	v_mov_b32_e32 v12, s24
	ds_write_b32 v11, v12 offset:32768
.LBB3_52:
	s_or_b64 exec, exec, s[8:9]
	v_cmp_eq_u32_e32 vcc, 0, v10
	s_and_b64 s[26:27], s[16:17], vcc
	s_waitcnt lgkmcnt(0)
	s_barrier
	s_and_saveexec_b64 s[8:9], s[26:27]
	s_cbranch_execz .LBB3_55
; %bb.53:
	v_mbcnt_lo_u32_b32 v10, exec_lo, 0
	v_mbcnt_hi_u32_b32 v10, exec_hi, v10
	v_cmp_eq_u32_e32 vcc, 0, v10
	s_and_b64 exec, exec, vcc
	s_cbranch_execz .LBB3_55
; %bb.54:
	v_mov_b32_e32 v10, 0
	v_mov_b32_e32 v11, s24
	ds_or_b32 v10, v11 offset:32768
.LBB3_55:
	s_or_b64 exec, exec, s[8:9]
	v_mov_b32_e32 v10, 0
	s_waitcnt lgkmcnt(0)
	s_barrier
	ds_read_b32 v10, v10 offset:32768
	s_waitcnt lgkmcnt(0)
	s_barrier
.LBB3_56:
	v_cmp_eq_u32_e32 vcc, 0, v10
	s_cbranch_vccz .LBB3_110
; %bb.57:
	ds_read_b32 v10, v24 offset:2048
	s_waitcnt lgkmcnt(0)
	s_barrier
	ds_write_b32 v27, v10
	s_waitcnt lgkmcnt(0)
	s_barrier
	s_and_saveexec_b64 s[8:9], s[12:13]
	s_cbranch_execz .LBB3_59
; %bb.58:
	ds_read2_b32 v[12:13], v25 offset1:1
	ds_read2_b32 v[16:17], v25 offset0:2 offset1:3
	ds_read2_b32 v[18:19], v25 offset0:4 offset1:5
	ds_read2_b32 v[20:21], v25 offset0:6 offset1:7
	v_mbcnt_lo_u32_b32 v11, -1, 0
	s_waitcnt lgkmcnt(3)
	v_add_u32_e32 v29, v13, v12
	s_waitcnt lgkmcnt(2)
	v_add3_u32 v29, v29, v16, v17
	s_waitcnt lgkmcnt(1)
	v_add3_u32 v29, v29, v18, v19
	v_mbcnt_hi_u32_b32 v11, -1, v11
	s_waitcnt lgkmcnt(0)
	v_add3_u32 v29, v29, v20, v21
	v_and_b32_e32 v30, 15, v11
	v_cmp_ne_u32_e32 vcc, 0, v30
	v_mov_b32_dpp v31, v29 row_shr:1 row_mask:0xf bank_mask:0xf
	v_cndmask_b32_e32 v31, 0, v31, vcc
	v_add_u32_e32 v29, v31, v29
	v_cmp_lt_u32_e32 vcc, 1, v30
	s_nop 0
	v_mov_b32_dpp v31, v29 row_shr:2 row_mask:0xf bank_mask:0xf
	v_cndmask_b32_e32 v31, 0, v31, vcc
	v_add_u32_e32 v29, v29, v31
	v_cmp_lt_u32_e32 vcc, 3, v30
	s_nop 0
	;; [unrolled: 5-line block ×3, first 2 shown]
	v_mov_b32_dpp v31, v29 row_shr:8 row_mask:0xf bank_mask:0xf
	v_cndmask_b32_e32 v30, 0, v31, vcc
	v_add_u32_e32 v29, v29, v30
	v_bfe_i32 v31, v11, 4, 1
	v_cmp_lt_u32_e32 vcc, 31, v11
	v_mov_b32_dpp v30, v29 row_bcast:15 row_mask:0xf bank_mask:0xf
	v_and_b32_e32 v30, v31, v30
	v_add_u32_e32 v29, v29, v30
	v_and_b32_e32 v31, 64, v11
	s_nop 0
	v_mov_b32_dpp v30, v29 row_bcast:31 row_mask:0xf bank_mask:0xf
	v_cndmask_b32_e32 v30, 0, v30, vcc
	v_add_u32_e32 v29, v29, v30
	v_add_u32_e32 v30, -1, v11
	v_cmp_lt_i32_e32 vcc, v30, v31
	v_cndmask_b32_e32 v11, v30, v11, vcc
	v_lshlrev_b32_e32 v11, 2, v11
	ds_bpermute_b32 v11, v11, v29
	s_waitcnt lgkmcnt(0)
	v_add_u32_e32 v11, v11, v12
	v_cndmask_b32_e64 v10, v11, v10, s[10:11]
	v_add_u32_e32 v11, v10, v13
	ds_write2_b32 v25, v10, v11 offset1:1
	v_add_u32_e32 v10, v11, v16
	v_add_u32_e32 v11, v10, v17
	ds_write2_b32 v25, v10, v11 offset0:2 offset1:3
	v_add_u32_e32 v10, v11, v18
	v_add_u32_e32 v11, v10, v19
	ds_write2_b32 v25, v10, v11 offset0:4 offset1:5
	;; [unrolled: 3-line block ×3, first 2 shown]
.LBB3_59:
	s_or_b64 exec, exec, s[8:9]
	v_mov_b32_e32 v10, 0
	v_mov_b32_e32 v11, 0
	s_waitcnt lgkmcnt(0)
	s_barrier
	s_and_saveexec_b64 s[8:9], s[22:23]
	s_cbranch_execz .LBB3_61
; %bb.60:
	ds_read_b32 v11, v26
.LBB3_61:
	s_or_b64 exec, exec, s[8:9]
	ds_read_b32 v12, v10 offset:2104
	s_waitcnt lgkmcnt(1)
	v_add_u32_e32 v11, v11, v9
	v_cmp_lt_i32_e32 vcc, v11, v7
	ds_write_b32 v24, v11 offset:2048
	s_waitcnt lgkmcnt(0)
	v_add_u32_e32 v9, v12, v9
	s_barrier
	s_and_saveexec_b64 s[8:9], vcc
	s_cbranch_execz .LBB3_67
; %bb.62:
	v_mov_b32_e32 v12, v9
	s_and_saveexec_b64 s[24:25], s[14:15]
	s_cbranch_execz .LBB3_64
; %bb.63:
	ds_read_b32 v12, v24 offset:2052
.LBB3_64:
	s_or_b64 exec, exec, s[24:25]
	s_waitcnt lgkmcnt(0)
	v_cmp_ge_i32_e32 vcc, v12, v7
	v_mov_b32_e32 v10, 0
	s_and_saveexec_b64 s[24:25], vcc
	s_cbranch_execz .LBB3_66
; %bb.65:
	s_mov_b32 s26, 0x8000
	v_add_u32_e32 v10, 0x200, v14
	v_sub_u32_e32 v11, v12, v11
	v_add_u32_e64 v12, s26, 0
	ds_write2_b32 v12, v11, v10 offset0:65 offset1:67
	v_mov_b32_e32 v10, 1
.LBB3_66:
	s_or_b64 exec, exec, s[24:25]
.LBB3_67:
	s_or_b64 exec, exec, s[8:9]
	v_or_b32_dpp v10, v10, v10 row_shl:1 row_mask:0xf bank_mask:0xf bound_ctrl:1
	s_bitcmp1_b32 exec_hi, 0
	s_nop 0
	v_or_b32_dpp v10, v10, v10 row_shl:2 row_mask:0xf bank_mask:0xf bound_ctrl:1
	s_nop 1
	v_or_b32_dpp v10, v10, v10 row_shl:4 row_mask:0xf bank_mask:0xf bound_ctrl:1
	;; [unrolled: 2-line block ×3, first 2 shown]
	s_nop 1
	v_mov_b32_dpp v11, v10 wave_shl:1 row_mask:0xf bank_mask:0xf bound_ctrl:1
	s_nop 1
	v_or_b32_dpp v10, v11, v10 row_mirror row_mask:0xf bank_mask:0xf bound_ctrl:1
	v_readlane_b32 s8, v10, 32
	s_cselect_b32 s8, s8, 0
	v_readlane_b32 s9, v10, 0
	s_or_b32 s26, s8, s9
	v_cndmask_b32_e64 v10, 0, 1, s[38:39]
	v_cmp_ne_u32_e64 s[8:9], 1, v10
	s_andn2_b64 vcc, exec, s[38:39]
	v_mov_b32_e32 v10, s26
	s_cbranch_vccnz .LBB3_74
; %bb.68:
	v_mbcnt_lo_u32_b32 v10, -1, 0
	v_mbcnt_hi_u32_b32 v10, -1, v10
	v_or_b32_e32 v11, v10, v28
	v_cmp_eq_u32_e32 vcc, 0, v11
	s_and_saveexec_b64 s[24:25], vcc
	s_cbranch_execz .LBB3_70
; %bb.69:
	v_mov_b32_e32 v11, 0
	v_mov_b32_e32 v12, s26
	ds_write_b32 v11, v12 offset:32768
.LBB3_70:
	s_or_b64 exec, exec, s[24:25]
	v_cmp_eq_u32_e32 vcc, 0, v10
	s_and_b64 s[28:29], s[16:17], vcc
	s_waitcnt lgkmcnt(0)
	s_barrier
	s_and_saveexec_b64 s[24:25], s[28:29]
	s_cbranch_execz .LBB3_73
; %bb.71:
	v_mbcnt_lo_u32_b32 v10, exec_lo, 0
	v_mbcnt_hi_u32_b32 v10, exec_hi, v10
	v_cmp_eq_u32_e32 vcc, 0, v10
	s_and_b64 exec, exec, vcc
	s_cbranch_execz .LBB3_73
; %bb.72:
	v_mov_b32_e32 v10, 0
	v_mov_b32_e32 v11, s26
	ds_or_b32 v10, v11 offset:32768
.LBB3_73:
	s_or_b64 exec, exec, s[24:25]
	v_mov_b32_e32 v10, 0
	s_waitcnt lgkmcnt(0)
	s_barrier
	ds_read_b32 v10, v10 offset:32768
	s_waitcnt lgkmcnt(0)
	s_barrier
.LBB3_74:
	v_cmp_ne_u32_e32 vcc, 0, v10
	s_cbranch_vccnz .LBB3_110
; %bb.75:
	ds_read_b32 v10, v24 offset:4096
	s_waitcnt lgkmcnt(0)
	s_barrier
	ds_write_b32 v27, v10
	s_waitcnt lgkmcnt(0)
	s_barrier
	s_and_saveexec_b64 s[24:25], s[12:13]
	s_cbranch_execz .LBB3_77
; %bb.76:
	ds_read2_b32 v[12:13], v25 offset1:1
	ds_read2_b32 v[16:17], v25 offset0:2 offset1:3
	ds_read2_b32 v[18:19], v25 offset0:4 offset1:5
	;; [unrolled: 1-line block ×3, first 2 shown]
	v_mbcnt_lo_u32_b32 v11, -1, 0
	s_waitcnt lgkmcnt(3)
	v_add_u32_e32 v29, v13, v12
	s_waitcnt lgkmcnt(2)
	v_add3_u32 v29, v29, v16, v17
	s_waitcnt lgkmcnt(1)
	v_add3_u32 v29, v29, v18, v19
	v_mbcnt_hi_u32_b32 v11, -1, v11
	s_waitcnt lgkmcnt(0)
	v_add3_u32 v29, v29, v20, v21
	v_and_b32_e32 v30, 15, v11
	v_cmp_ne_u32_e32 vcc, 0, v30
	v_mov_b32_dpp v31, v29 row_shr:1 row_mask:0xf bank_mask:0xf
	v_cndmask_b32_e32 v31, 0, v31, vcc
	v_add_u32_e32 v29, v31, v29
	v_cmp_lt_u32_e32 vcc, 1, v30
	s_nop 0
	v_mov_b32_dpp v31, v29 row_shr:2 row_mask:0xf bank_mask:0xf
	v_cndmask_b32_e32 v31, 0, v31, vcc
	v_add_u32_e32 v29, v29, v31
	v_cmp_lt_u32_e32 vcc, 3, v30
	s_nop 0
	;; [unrolled: 5-line block ×3, first 2 shown]
	v_mov_b32_dpp v31, v29 row_shr:8 row_mask:0xf bank_mask:0xf
	v_cndmask_b32_e32 v30, 0, v31, vcc
	v_add_u32_e32 v29, v29, v30
	v_bfe_i32 v31, v11, 4, 1
	v_cmp_lt_u32_e32 vcc, 31, v11
	v_mov_b32_dpp v30, v29 row_bcast:15 row_mask:0xf bank_mask:0xf
	v_and_b32_e32 v30, v31, v30
	v_add_u32_e32 v29, v29, v30
	v_and_b32_e32 v31, 64, v11
	s_nop 0
	v_mov_b32_dpp v30, v29 row_bcast:31 row_mask:0xf bank_mask:0xf
	v_cndmask_b32_e32 v30, 0, v30, vcc
	v_add_u32_e32 v29, v29, v30
	v_add_u32_e32 v30, -1, v11
	v_cmp_lt_i32_e32 vcc, v30, v31
	v_cndmask_b32_e32 v11, v30, v11, vcc
	v_lshlrev_b32_e32 v11, 2, v11
	ds_bpermute_b32 v11, v11, v29
	s_waitcnt lgkmcnt(0)
	v_add_u32_e32 v11, v11, v12
	v_cndmask_b32_e64 v10, v11, v10, s[10:11]
	v_add_u32_e32 v11, v10, v13
	ds_write2_b32 v25, v10, v11 offset1:1
	v_add_u32_e32 v10, v11, v16
	v_add_u32_e32 v11, v10, v17
	ds_write2_b32 v25, v10, v11 offset0:2 offset1:3
	v_add_u32_e32 v10, v11, v18
	v_add_u32_e32 v11, v10, v19
	ds_write2_b32 v25, v10, v11 offset0:4 offset1:5
	v_add_u32_e32 v10, v11, v20
	v_add_u32_e32 v11, v10, v21
	ds_write2_b32 v25, v10, v11 offset0:6 offset1:7
.LBB3_77:
	s_or_b64 exec, exec, s[24:25]
	v_mov_b32_e32 v10, 0
	v_mov_b32_e32 v11, 0
	s_waitcnt lgkmcnt(0)
	s_barrier
	s_and_saveexec_b64 s[24:25], s[22:23]
	s_cbranch_execz .LBB3_79
; %bb.78:
	ds_read_b32 v11, v26
.LBB3_79:
	s_or_b64 exec, exec, s[24:25]
	ds_read_b32 v12, v10 offset:2104
	s_waitcnt lgkmcnt(1)
	v_add_u32_e32 v11, v11, v9
	v_cmp_lt_i32_e32 vcc, v11, v7
	ds_write_b32 v24, v11 offset:4096
	s_waitcnt lgkmcnt(0)
	v_add_u32_e32 v9, v12, v9
	s_barrier
	s_and_saveexec_b64 s[24:25], vcc
	s_cbranch_execz .LBB3_85
; %bb.80:
	v_mov_b32_e32 v12, v9
	s_and_saveexec_b64 s[26:27], s[14:15]
	s_cbranch_execz .LBB3_82
; %bb.81:
	ds_read_b32 v12, v24 offset:4100
.LBB3_82:
	s_or_b64 exec, exec, s[26:27]
	s_waitcnt lgkmcnt(0)
	v_cmp_ge_i32_e32 vcc, v12, v7
	v_mov_b32_e32 v10, 0
	s_and_saveexec_b64 s[26:27], vcc
	s_cbranch_execz .LBB3_84
; %bb.83:
	s_mov_b32 s28, 0x8000
	v_or_b32_e32 v10, 0x400, v14
	v_sub_u32_e32 v11, v12, v11
	v_add_u32_e64 v12, s28, 0
	ds_write2_b32 v12, v11, v10 offset0:65 offset1:67
	v_mov_b32_e32 v10, 1
.LBB3_84:
	s_or_b64 exec, exec, s[26:27]
.LBB3_85:
	s_or_b64 exec, exec, s[24:25]
	v_or_b32_dpp v10, v10, v10 row_shl:1 row_mask:0xf bank_mask:0xf bound_ctrl:1
	s_bitcmp1_b32 exec_hi, 0
	s_nop 0
	v_or_b32_dpp v10, v10, v10 row_shl:2 row_mask:0xf bank_mask:0xf bound_ctrl:1
	s_nop 1
	v_or_b32_dpp v10, v10, v10 row_shl:4 row_mask:0xf bank_mask:0xf bound_ctrl:1
	s_nop 1
	v_or_b32_dpp v10, v10, v10 row_shl:8 row_mask:0xf bank_mask:0xf bound_ctrl:1
	s_nop 1
	v_mov_b32_dpp v11, v10 wave_shl:1 row_mask:0xf bank_mask:0xf bound_ctrl:1
	s_nop 1
	v_or_b32_dpp v10, v11, v10 row_mirror row_mask:0xf bank_mask:0xf bound_ctrl:1
	v_readlane_b32 s24, v10, 32
	s_cselect_b32 s24, s24, 0
	v_readlane_b32 s25, v10, 0
	s_or_b32 s26, s24, s25
	s_and_b64 vcc, exec, s[8:9]
	v_mov_b32_e32 v10, s26
	s_cbranch_vccnz .LBB3_92
; %bb.86:
	v_mbcnt_lo_u32_b32 v10, -1, 0
	v_mbcnt_hi_u32_b32 v10, -1, v10
	v_or_b32_e32 v11, v10, v28
	v_cmp_eq_u32_e32 vcc, 0, v11
	s_and_saveexec_b64 s[24:25], vcc
	s_cbranch_execz .LBB3_88
; %bb.87:
	v_mov_b32_e32 v11, 0
	v_mov_b32_e32 v12, s26
	ds_write_b32 v11, v12 offset:32768
.LBB3_88:
	s_or_b64 exec, exec, s[24:25]
	v_cmp_eq_u32_e32 vcc, 0, v10
	s_and_b64 s[28:29], s[16:17], vcc
	s_waitcnt lgkmcnt(0)
	s_barrier
	s_and_saveexec_b64 s[24:25], s[28:29]
	s_cbranch_execz .LBB3_91
; %bb.89:
	v_mbcnt_lo_u32_b32 v10, exec_lo, 0
	v_mbcnt_hi_u32_b32 v10, exec_hi, v10
	v_cmp_eq_u32_e32 vcc, 0, v10
	s_and_b64 exec, exec, vcc
	s_cbranch_execz .LBB3_91
; %bb.90:
	v_mov_b32_e32 v10, 0
	v_mov_b32_e32 v11, s26
	ds_or_b32 v10, v11 offset:32768
.LBB3_91:
	s_or_b64 exec, exec, s[24:25]
	v_mov_b32_e32 v10, 0
	s_waitcnt lgkmcnt(0)
	s_barrier
	ds_read_b32 v10, v10 offset:32768
	s_waitcnt lgkmcnt(0)
	s_barrier
.LBB3_92:
	v_cmp_ne_u32_e32 vcc, 0, v10
	s_cbranch_vccnz .LBB3_110
; %bb.93:
	ds_read_b32 v10, v24 offset:6144
	s_waitcnt lgkmcnt(0)
	s_barrier
	ds_write_b32 v27, v10
	s_waitcnt lgkmcnt(0)
	s_barrier
	s_and_saveexec_b64 s[24:25], s[12:13]
	s_cbranch_execz .LBB3_95
; %bb.94:
	ds_read2_b32 v[12:13], v25 offset1:1
	ds_read2_b32 v[16:17], v25 offset0:2 offset1:3
	ds_read2_b32 v[18:19], v25 offset0:4 offset1:5
	;; [unrolled: 1-line block ×3, first 2 shown]
	v_mbcnt_lo_u32_b32 v11, -1, 0
	s_waitcnt lgkmcnt(3)
	v_add_u32_e32 v29, v13, v12
	s_waitcnt lgkmcnt(2)
	v_add3_u32 v29, v29, v16, v17
	s_waitcnt lgkmcnt(1)
	v_add3_u32 v29, v29, v18, v19
	v_mbcnt_hi_u32_b32 v11, -1, v11
	s_waitcnt lgkmcnt(0)
	v_add3_u32 v29, v29, v20, v21
	v_and_b32_e32 v30, 15, v11
	v_cmp_ne_u32_e32 vcc, 0, v30
	v_mov_b32_dpp v31, v29 row_shr:1 row_mask:0xf bank_mask:0xf
	v_cndmask_b32_e32 v31, 0, v31, vcc
	v_add_u32_e32 v29, v31, v29
	v_cmp_lt_u32_e32 vcc, 1, v30
	s_nop 0
	v_mov_b32_dpp v31, v29 row_shr:2 row_mask:0xf bank_mask:0xf
	v_cndmask_b32_e32 v31, 0, v31, vcc
	v_add_u32_e32 v29, v29, v31
	v_cmp_lt_u32_e32 vcc, 3, v30
	s_nop 0
	;; [unrolled: 5-line block ×3, first 2 shown]
	v_mov_b32_dpp v31, v29 row_shr:8 row_mask:0xf bank_mask:0xf
	v_cndmask_b32_e32 v30, 0, v31, vcc
	v_add_u32_e32 v29, v29, v30
	v_bfe_i32 v31, v11, 4, 1
	v_cmp_lt_u32_e32 vcc, 31, v11
	v_mov_b32_dpp v30, v29 row_bcast:15 row_mask:0xf bank_mask:0xf
	v_and_b32_e32 v30, v31, v30
	v_add_u32_e32 v29, v29, v30
	v_and_b32_e32 v31, 64, v11
	s_nop 0
	v_mov_b32_dpp v30, v29 row_bcast:31 row_mask:0xf bank_mask:0xf
	v_cndmask_b32_e32 v30, 0, v30, vcc
	v_add_u32_e32 v29, v29, v30
	v_add_u32_e32 v30, -1, v11
	v_cmp_lt_i32_e32 vcc, v30, v31
	v_cndmask_b32_e32 v11, v30, v11, vcc
	v_lshlrev_b32_e32 v11, 2, v11
	ds_bpermute_b32 v11, v11, v29
	s_waitcnt lgkmcnt(0)
	v_add_u32_e32 v11, v11, v12
	v_cndmask_b32_e64 v10, v11, v10, s[10:11]
	v_add_u32_e32 v11, v10, v13
	ds_write2_b32 v25, v10, v11 offset1:1
	v_add_u32_e32 v10, v11, v16
	v_add_u32_e32 v11, v10, v17
	ds_write2_b32 v25, v10, v11 offset0:2 offset1:3
	v_add_u32_e32 v10, v11, v18
	v_add_u32_e32 v11, v10, v19
	ds_write2_b32 v25, v10, v11 offset0:4 offset1:5
	;; [unrolled: 3-line block ×3, first 2 shown]
.LBB3_95:
	s_or_b64 exec, exec, s[24:25]
	v_mov_b32_e32 v10, 0
	v_mov_b32_e32 v11, 0
	s_waitcnt lgkmcnt(0)
	s_barrier
	s_and_saveexec_b64 s[24:25], s[22:23]
	s_cbranch_execz .LBB3_97
; %bb.96:
	ds_read_b32 v11, v26
.LBB3_97:
	s_or_b64 exec, exec, s[24:25]
	ds_read_b32 v12, v10 offset:2104
	s_waitcnt lgkmcnt(1)
	v_add_u32_e32 v11, v11, v9
	v_cmp_lt_i32_e32 vcc, v11, v7
	ds_write_b32 v24, v11 offset:6144
	s_waitcnt lgkmcnt(0)
	s_barrier
	s_and_saveexec_b64 s[24:25], vcc
	s_cbranch_execz .LBB3_103
; %bb.98:
	v_add_u32_e32 v9, v12, v9
	s_and_saveexec_b64 s[26:27], s[14:15]
	s_cbranch_execz .LBB3_100
; %bb.99:
	ds_read_b32 v9, v24 offset:6148
.LBB3_100:
	s_or_b64 exec, exec, s[26:27]
	s_waitcnt lgkmcnt(0)
	v_cmp_ge_i32_e32 vcc, v9, v7
	v_mov_b32_e32 v10, 0
	s_and_saveexec_b64 s[26:27], vcc
	s_cbranch_execz .LBB3_102
; %bb.101:
	s_mov_b32 s28, 0x8000
	v_add_u32_e32 v10, 0x600, v14
	v_sub_u32_e32 v9, v9, v11
	v_add_u32_e64 v11, s28, 0
	ds_write2_b32 v11, v9, v10 offset0:65 offset1:67
	v_mov_b32_e32 v10, 1
.LBB3_102:
	s_or_b64 exec, exec, s[26:27]
.LBB3_103:
	s_or_b64 exec, exec, s[24:25]
	v_or_b32_dpp v9, v10, v10 row_shl:1 row_mask:0xf bank_mask:0xf bound_ctrl:1
	s_and_b64 vcc, exec, s[8:9]
	s_nop 0
	v_or_b32_dpp v9, v9, v9 row_shl:2 row_mask:0xf bank_mask:0xf bound_ctrl:1
	s_nop 1
	v_or_b32_dpp v9, v9, v9 row_shl:4 row_mask:0xf bank_mask:0xf bound_ctrl:1
	;; [unrolled: 2-line block ×3, first 2 shown]
	s_nop 1
	v_mov_b32_dpp v10, v9 wave_shl:1 row_mask:0xf bank_mask:0xf bound_ctrl:1
	s_nop 1
	v_or_b32_dpp v9, v10, v9 row_mirror row_mask:0xf bank_mask:0xf bound_ctrl:1
	v_readlane_b32 s24, v9, 32
	v_readlane_b32 s8, v9, 0
	s_cbranch_vccnz .LBB3_110
; %bb.104:
	v_mbcnt_lo_u32_b32 v9, -1, 0
	s_bitcmp1_b32 exec_hi, 0
	v_mbcnt_hi_u32_b32 v9, -1, v9
	s_cselect_b32 s9, s24, 0
	v_or_b32_e32 v10, v9, v28
	s_or_b32 s24, s9, s8
	v_cmp_eq_u32_e32 vcc, 0, v10
	s_and_saveexec_b64 s[8:9], vcc
	s_cbranch_execz .LBB3_106
; %bb.105:
	v_mov_b32_e32 v10, 0
	v_mov_b32_e32 v11, s24
	ds_write_b32 v10, v11 offset:32768
.LBB3_106:
	s_or_b64 exec, exec, s[8:9]
	v_cmp_eq_u32_e32 vcc, 0, v9
	s_and_b64 s[26:27], s[16:17], vcc
	s_waitcnt lgkmcnt(0)
	s_barrier
	s_and_saveexec_b64 s[8:9], s[26:27]
	s_cbranch_execz .LBB3_109
; %bb.107:
	v_mbcnt_lo_u32_b32 v9, exec_lo, 0
	v_mbcnt_hi_u32_b32 v9, exec_hi, v9
	v_cmp_eq_u32_e32 vcc, 0, v9
	s_and_b64 exec, exec, vcc
	s_cbranch_execz .LBB3_109
; %bb.108:
	v_mov_b32_e32 v9, 0
	v_mov_b32_e32 v10, s24
	ds_or_b32 v9, v10 offset:32768
.LBB3_109:
	s_or_b64 exec, exec, s[8:9]
	v_mov_b32_e32 v9, 0
	s_waitcnt lgkmcnt(0)
	s_barrier
	ds_read_b32 v9, v9 offset:32768
	s_waitcnt lgkmcnt(0)
	s_barrier
.LBB3_110:
	v_mov_b32_e32 v9, 0
	s_waitcnt lgkmcnt(0)
	s_barrier
	ds_read_b32 v29, v9 offset:33036
	s_and_saveexec_b64 s[8:9], s[6:7]
	s_xor_b64 s[8:9], exec, s[8:9]
	s_cbranch_execz .LBB3_123
; %bb.111:
	v_add_u32_e32 v9, v14, v2
	v_cmp_lt_i32_e32 vcc, v9, v8
	s_and_saveexec_b64 s[24:25], vcc
	s_cbranch_execz .LBB3_122
; %bb.112:
	v_mov_b32_e32 v12, 0
	ds_read_b32 v11, v12 offset:33028
	v_mul_lo_u32 v10, v6, v9
	v_lshlrev_b32_e32 v13, 9, v6
	s_mov_b64 s[30:31], 0
	s_waitcnt lgkmcnt(0)
	v_readfirstlane_b32 s26, v11
	s_cmpk_lt_i32 s26, 0x801
	s_cselect_b64 s[26:27], -1, 0
	s_ashr_i32 s35, s34, 31
	s_getpc_b64 s[28:29]
	s_add_u32 s28, s28, llvm.amdgcn.dynlds.offset.table@rel32@lo+4
	s_addc_u32 s29, s29, llvm.amdgcn.dynlds.offset.table@rel32@hi+12
	s_lshl_b64 vcc, s[34:35], 2
	s_add_u32 s28, vcc_lo, s28
	s_addc_u32 s29, vcc_hi, s29
	s_branch .LBB3_115
.LBB3_113:                              ;   in Loop: Header=BB3_115 Depth=1
	s_or_b64 exec, exec, s[42:43]
	s_waitcnt lgkmcnt(0)
	v_readfirstlane_b32 vcc_lo, v17
	v_add_lshl_u32 v16, vcc_lo, v16, 2
	ds_write2st64_b32 v16, v9, v11 offset1:32
.LBB3_114:                              ;   in Loop: Header=BB3_115 Depth=1
	s_or_b64 exec, exec, s[40:41]
	v_add_u32_e32 v9, 0x200, v9
	v_cmp_ge_i32_e32 vcc, v9, v8
	s_or_b64 s[30:31], vcc, s[30:31]
	v_add_u32_e32 v10, v10, v13
	s_andn2_b64 exec, exec, s[30:31]
	s_cbranch_execz .LBB3_122
.LBB3_115:                              ; =>This Inner Loop Header: Depth=1
	v_ashrrev_i32_e32 v11, 31, v10
	v_lshlrev_b64 v[16:17], 2, v[10:11]
	v_add_co_u32_e32 v16, vcc, v0, v16
	v_addc_co_u32_e32 v17, vcc, v1, v17, vcc
	flat_load_dword v11, v[16:17]
	s_waitcnt vmcnt(0) lgkmcnt(0)
	v_cvt_f16_f32_e32 v16, v11
	v_xor_b32_e32 v17, -1, v16
	v_and_b32_e32 v17, 0x7fe0, v17
	v_cmp_gt_i16_e32 vcc, 0, v16
	v_cndmask_b32_e32 v16, v17, v16, vcc
	v_lshrrev_b16_e32 v16, 5, v16
	v_cmp_gt_u32_e32 vcc, v29, v16
	s_and_b64 vcc, vcc, s[26:27]
	s_and_saveexec_b64 s[40:41], vcc
	s_cbranch_execz .LBB3_119
; %bb.116:                              ;   in Loop: Header=BB3_115 Depth=1
	s_mov_b64 s[44:45], exec
	v_mbcnt_lo_u32_b32 v17, s44, 0
	v_mbcnt_hi_u32_b32 v17, s45, v17
	v_cmp_eq_u32_e32 vcc, 0, v17
                                        ; implicit-def: $vgpr18
	s_and_saveexec_b64 s[42:43], vcc
	s_cbranch_execz .LBB3_118
; %bb.117:                              ;   in Loop: Header=BB3_115 Depth=1
	s_bcnt1_i32_b64 vcc_lo, s[44:45]
	v_mov_b32_e32 v18, vcc_lo
	ds_add_rtn_u32 v18, v12, v18 offset:33032
.LBB3_118:                              ;   in Loop: Header=BB3_115 Depth=1
	s_or_b64 exec, exec, s[42:43]
	s_load_dword vcc_lo, s[28:29], 0x0
	s_waitcnt lgkmcnt(0)
	v_readfirstlane_b32 vcc_hi, v18
	v_add_u32_e32 v17, vcc_hi, v17
	v_lshl_add_u32 v17, v17, 2, vcc_lo
	ds_write_b32 v17, v9
.LBB3_119:                              ;   in Loop: Header=BB3_115 Depth=1
	s_or_b64 exec, exec, s[40:41]
	v_cmp_eq_u32_e32 vcc, v29, v16
	s_and_b64 vcc, vcc, s[26:27]
	s_and_saveexec_b64 s[40:41], vcc
	s_cbranch_execz .LBB3_114
; %bb.120:                              ;   in Loop: Header=BB3_115 Depth=1
	s_mov_b64 s[44:45], exec
	v_mbcnt_lo_u32_b32 v16, s44, 0
	v_mbcnt_hi_u32_b32 v16, s45, v16
	v_cmp_eq_u32_e32 vcc, 0, v16
                                        ; implicit-def: $vgpr17
	s_and_saveexec_b64 s[42:43], vcc
	s_cbranch_execz .LBB3_113
; %bb.121:                              ;   in Loop: Header=BB3_115 Depth=1
	s_bcnt1_i32_b64 vcc_lo, s[44:45]
	v_mov_b32_e32 v17, vcc_lo
	ds_add_rtn_u32 v17, v12, v17 offset:33024
	s_branch .LBB3_113
.LBB3_122:
	s_or_b64 exec, exec, s[24:25]
.LBB3_123:
	s_andn2_saveexec_b64 s[24:25], s[8:9]
	s_cbranch_execz .LBB3_178
; %bb.124:
	v_lshlrev_b64 v[10:11], 2, v[2:3]
	v_add_co_u32_e32 v9, vcc, v0, v10
	v_and_b32_e32 v18, 15, v9
	v_mov_b32_e32 v19, 0
	v_addc_co_u32_e32 v30, vcc, v1, v11, vcc
	v_sub_u32_e32 v12, 16, v18
	v_lshrrev_b32_e32 v12, 2, v12
	v_cmp_ne_u64_e32 vcc, 0, v[18:19]
	v_cndmask_b32_e32 v12, 0, v12, vcc
	v_min_i32_e32 v16, v12, v22
	v_sub_u32_e32 v12, v22, v16
	v_ashrrev_i32_e32 v13, 31, v12
	v_lshrrev_b32_e32 v13, 30, v13
	v_add_u32_e32 v12, v12, v13
	v_ashrrev_i32_e32 v18, 2, v12
	s_mov_b64 s[26:27], 0
	v_ashrrev_i32_e32 v17, 31, v16
	v_cmp_gt_i32_e32 vcc, v18, v14
	s_and_saveexec_b64 s[28:29], vcc
	s_cbranch_execz .LBB3_159
; %bb.125:
	ds_read_b32 v12, v19 offset:33028
	v_lshlrev_b32_e32 v20, 4, v14
	v_lshl_add_u32 v31, v14, 2, v16
	s_waitcnt lgkmcnt(0)
	v_readfirstlane_b32 s8, v12
	s_cmpk_lt_i32 s8, 0x801
	s_cselect_b64 s[30:31], -1, 0
	s_cmpk_gt_i32 s8, 0x800
	s_cselect_b64 s[8:9], -1, 0
	s_ashr_i32 s35, s34, 31
	s_getpc_b64 vcc
	s_add_u32 vcc_lo, vcc_lo, llvm.amdgcn.dynlds.offset.table@rel32@lo+4
	s_addc_u32 vcc_hi, vcc_hi, llvm.amdgcn.dynlds.offset.table@rel32@hi+12
	s_lshl_b64 s[40:41], s[34:35], 2
	s_add_u32 s40, s40, vcc_lo
	v_lshlrev_b64 v[12:13], 2, v[16:17]
	s_addc_u32 s41, s41, vcc_hi
	v_add_co_u32_e32 v12, vcc, v20, v12
	v_addc_co_u32_e32 v13, vcc, 0, v13, vcc
	v_add_co_u32_e32 v10, vcc, v12, v10
	v_addc_co_u32_e32 v11, vcc, v13, v11, vcc
	v_add_co_u32_e32 v20, vcc, v0, v10
	v_addc_co_u32_e32 v21, vcc, v1, v11, vcc
	s_xor_b64 s[42:43], s[8:9], -1
	v_mov_b32_e32 v17, v14
	s_branch .LBB3_128
.LBB3_126:                              ;   in Loop: Header=BB3_128 Depth=1
	s_or_b64 exec, exec, s[44:45]
	s_waitcnt lgkmcnt(0)
	v_readfirstlane_b32 vcc_lo, v12
	v_add_lshl_u32 v11, vcc_lo, v11, 2
	ds_write2st64_b32 v11, v10, v13 offset1:32
.LBB3_127:                              ;   in Loop: Header=BB3_128 Depth=1
	s_or_b64 exec, exec, s[8:9]
	v_add_u32_e32 v17, 0x200, v17
	v_add_co_u32_e32 v20, vcc, 0x2000, v20
	v_cmp_ge_i32_e64 s[8:9], v17, v18
	v_add_u32_e32 v31, 0x800, v31
	s_or_b64 s[26:27], s[8:9], s[26:27]
	v_addc_co_u32_e32 v21, vcc, 0, v21, vcc
	s_andn2_b64 exec, exec, s[26:27]
	s_cbranch_execz .LBB3_159
.LBB3_128:                              ; =>This Inner Loop Header: Depth=1
	flat_load_dwordx4 v[10:13], v[20:21]
	s_waitcnt vmcnt(0) lgkmcnt(0)
	v_cvt_f16_f32_e32 v32, v10
	v_xor_b32_e32 v33, -1, v32
	v_and_b32_e32 v33, 0x7fe0, v33
	v_cmp_gt_i16_e32 vcc, 0, v32
	v_cndmask_b32_e32 v32, v33, v32, vcc
	v_lshrrev_b16_e32 v32, 5, v32
	v_cmp_gt_u32_e32 vcc, v29, v32
	s_and_b64 vcc, vcc, s[30:31]
	s_and_saveexec_b64 s[8:9], vcc
	s_cbranch_execz .LBB3_132
; %bb.129:                              ;   in Loop: Header=BB3_128 Depth=1
	s_mov_b64 s[46:47], exec
	v_mbcnt_lo_u32_b32 v33, s46, 0
	v_mbcnt_hi_u32_b32 v33, s47, v33
	v_cmp_eq_u32_e32 vcc, 0, v33
                                        ; implicit-def: $vgpr34
	s_and_saveexec_b64 s[44:45], vcc
	s_cbranch_execz .LBB3_131
; %bb.130:                              ;   in Loop: Header=BB3_128 Depth=1
	s_bcnt1_i32_b64 vcc_lo, s[46:47]
	v_mov_b32_e32 v34, vcc_lo
	ds_add_rtn_u32 v34, v19, v34 offset:33032
.LBB3_131:                              ;   in Loop: Header=BB3_128 Depth=1
	s_or_b64 exec, exec, s[44:45]
	s_load_dword vcc_lo, s[40:41], 0x0
	s_waitcnt lgkmcnt(0)
	v_readfirstlane_b32 vcc_hi, v34
	v_add_u32_e32 v33, vcc_hi, v33
	v_lshl_add_u32 v33, v33, 2, vcc_lo
	ds_write_b32 v33, v31
.LBB3_132:                              ;   in Loop: Header=BB3_128 Depth=1
	s_or_b64 exec, exec, s[8:9]
	v_cmp_eq_u32_e32 vcc, v29, v32
	s_and_b64 vcc, vcc, s[42:43]
	s_and_saveexec_b64 s[8:9], vcc
	s_cbranch_execz .LBB3_136
; %bb.133:                              ;   in Loop: Header=BB3_128 Depth=1
	s_mov_b64 s[46:47], exec
	v_mbcnt_lo_u32_b32 v32, s46, 0
	v_mbcnt_hi_u32_b32 v32, s47, v32
	v_cmp_eq_u32_e32 vcc, 0, v32
                                        ; implicit-def: $vgpr33
	s_and_saveexec_b64 s[44:45], vcc
	s_cbranch_execz .LBB3_135
; %bb.134:                              ;   in Loop: Header=BB3_128 Depth=1
	s_bcnt1_i32_b64 vcc_lo, s[46:47]
	v_mov_b32_e32 v33, vcc_lo
	ds_add_rtn_u32 v33, v19, v33 offset:33024
.LBB3_135:                              ;   in Loop: Header=BB3_128 Depth=1
	s_or_b64 exec, exec, s[44:45]
	s_waitcnt lgkmcnt(0)
	v_readfirstlane_b32 vcc_lo, v33
	v_add_lshl_u32 v32, vcc_lo, v32, 2
	ds_write2st64_b32 v32, v31, v10 offset1:32
.LBB3_136:                              ;   in Loop: Header=BB3_128 Depth=1
	s_or_b64 exec, exec, s[8:9]
	v_cvt_f16_f32_e32 v32, v11
	v_add_u32_e32 v10, 1, v31
	v_xor_b32_e32 v33, -1, v32
	v_and_b32_e32 v33, 0x7fe0, v33
	v_cmp_gt_i16_e32 vcc, 0, v32
	v_cndmask_b32_e32 v32, v33, v32, vcc
	v_lshrrev_b16_e32 v32, 5, v32
	v_cmp_gt_u32_e32 vcc, v29, v32
	s_and_b64 vcc, vcc, s[30:31]
	s_and_saveexec_b64 s[8:9], vcc
	s_cbranch_execz .LBB3_140
; %bb.137:                              ;   in Loop: Header=BB3_128 Depth=1
	s_mov_b64 s[46:47], exec
	v_mbcnt_lo_u32_b32 v33, s46, 0
	v_mbcnt_hi_u32_b32 v33, s47, v33
	v_cmp_eq_u32_e32 vcc, 0, v33
                                        ; implicit-def: $vgpr34
	s_and_saveexec_b64 s[44:45], vcc
	s_cbranch_execz .LBB3_139
; %bb.138:                              ;   in Loop: Header=BB3_128 Depth=1
	s_bcnt1_i32_b64 vcc_lo, s[46:47]
	v_mov_b32_e32 v34, vcc_lo
	ds_add_rtn_u32 v34, v19, v34 offset:33032
.LBB3_139:                              ;   in Loop: Header=BB3_128 Depth=1
	s_or_b64 exec, exec, s[44:45]
	s_load_dword vcc_lo, s[40:41], 0x0
	s_waitcnt lgkmcnt(0)
	v_readfirstlane_b32 vcc_hi, v34
	v_add_u32_e32 v33, vcc_hi, v33
	v_lshl_add_u32 v33, v33, 2, vcc_lo
	ds_write_b32 v33, v10
.LBB3_140:                              ;   in Loop: Header=BB3_128 Depth=1
	s_or_b64 exec, exec, s[8:9]
	v_cmp_eq_u32_e32 vcc, v29, v32
	s_and_b64 vcc, vcc, s[42:43]
	s_and_saveexec_b64 s[8:9], vcc
	s_cbranch_execz .LBB3_144
; %bb.141:                              ;   in Loop: Header=BB3_128 Depth=1
	s_mov_b64 s[46:47], exec
	v_mbcnt_lo_u32_b32 v32, s46, 0
	v_mbcnt_hi_u32_b32 v32, s47, v32
	v_cmp_eq_u32_e32 vcc, 0, v32
                                        ; implicit-def: $vgpr33
	s_and_saveexec_b64 s[44:45], vcc
	s_cbranch_execz .LBB3_143
; %bb.142:                              ;   in Loop: Header=BB3_128 Depth=1
	s_bcnt1_i32_b64 vcc_lo, s[46:47]
	v_mov_b32_e32 v33, vcc_lo
	ds_add_rtn_u32 v33, v19, v33 offset:33024
.LBB3_143:                              ;   in Loop: Header=BB3_128 Depth=1
	s_or_b64 exec, exec, s[44:45]
	s_waitcnt lgkmcnt(0)
	v_readfirstlane_b32 vcc_lo, v33
	v_add_lshl_u32 v32, vcc_lo, v32, 2
	ds_write2st64_b32 v32, v10, v11 offset1:32
.LBB3_144:                              ;   in Loop: Header=BB3_128 Depth=1
	s_or_b64 exec, exec, s[8:9]
	v_cvt_f16_f32_e32 v11, v12
	v_add_u32_e32 v10, 2, v31
	v_xor_b32_e32 v32, -1, v11
	v_and_b32_e32 v32, 0x7fe0, v32
	v_cmp_gt_i16_e32 vcc, 0, v11
	v_cndmask_b32_e32 v11, v32, v11, vcc
	v_lshrrev_b16_e32 v11, 5, v11
	v_cmp_gt_u32_e32 vcc, v29, v11
	s_and_b64 vcc, vcc, s[30:31]
	s_and_saveexec_b64 s[8:9], vcc
	s_cbranch_execz .LBB3_148
; %bb.145:                              ;   in Loop: Header=BB3_128 Depth=1
	s_mov_b64 s[46:47], exec
	v_mbcnt_lo_u32_b32 v32, s46, 0
	v_mbcnt_hi_u32_b32 v32, s47, v32
	v_cmp_eq_u32_e32 vcc, 0, v32
                                        ; implicit-def: $vgpr33
	s_and_saveexec_b64 s[44:45], vcc
	s_cbranch_execz .LBB3_147
; %bb.146:                              ;   in Loop: Header=BB3_128 Depth=1
	s_bcnt1_i32_b64 vcc_lo, s[46:47]
	v_mov_b32_e32 v33, vcc_lo
	ds_add_rtn_u32 v33, v19, v33 offset:33032
.LBB3_147:                              ;   in Loop: Header=BB3_128 Depth=1
	s_or_b64 exec, exec, s[44:45]
	s_load_dword vcc_lo, s[40:41], 0x0
	s_waitcnt lgkmcnt(0)
	v_readfirstlane_b32 vcc_hi, v33
	v_add_u32_e32 v32, vcc_hi, v32
	v_lshl_add_u32 v32, v32, 2, vcc_lo
	ds_write_b32 v32, v10
.LBB3_148:                              ;   in Loop: Header=BB3_128 Depth=1
	s_or_b64 exec, exec, s[8:9]
	v_cmp_eq_u32_e32 vcc, v29, v11
	s_and_b64 vcc, vcc, s[42:43]
	s_and_saveexec_b64 s[8:9], vcc
	s_cbranch_execz .LBB3_152
; %bb.149:                              ;   in Loop: Header=BB3_128 Depth=1
	s_mov_b64 s[46:47], exec
	v_mbcnt_lo_u32_b32 v11, s46, 0
	v_mbcnt_hi_u32_b32 v11, s47, v11
	v_cmp_eq_u32_e32 vcc, 0, v11
                                        ; implicit-def: $vgpr32
	s_and_saveexec_b64 s[44:45], vcc
	s_cbranch_execz .LBB3_151
; %bb.150:                              ;   in Loop: Header=BB3_128 Depth=1
	s_bcnt1_i32_b64 vcc_lo, s[46:47]
	v_mov_b32_e32 v32, vcc_lo
	ds_add_rtn_u32 v32, v19, v32 offset:33024
.LBB3_151:                              ;   in Loop: Header=BB3_128 Depth=1
	s_or_b64 exec, exec, s[44:45]
	s_waitcnt lgkmcnt(0)
	v_readfirstlane_b32 vcc_lo, v32
	v_add_lshl_u32 v11, vcc_lo, v11, 2
	ds_write2st64_b32 v11, v10, v12 offset1:32
.LBB3_152:                              ;   in Loop: Header=BB3_128 Depth=1
	s_or_b64 exec, exec, s[8:9]
	v_cvt_f16_f32_e32 v11, v13
	v_add_u32_e32 v10, 3, v31
	v_xor_b32_e32 v12, -1, v11
	v_and_b32_e32 v12, 0x7fe0, v12
	v_cmp_gt_i16_e32 vcc, 0, v11
	v_cndmask_b32_e32 v11, v12, v11, vcc
	v_lshrrev_b16_e32 v11, 5, v11
	v_cmp_gt_u32_e32 vcc, v29, v11
	s_and_b64 vcc, vcc, s[30:31]
	s_and_saveexec_b64 s[8:9], vcc
	s_cbranch_execz .LBB3_156
; %bb.153:                              ;   in Loop: Header=BB3_128 Depth=1
	s_mov_b64 s[46:47], exec
	v_mbcnt_lo_u32_b32 v12, s46, 0
	v_mbcnt_hi_u32_b32 v12, s47, v12
	v_cmp_eq_u32_e32 vcc, 0, v12
                                        ; implicit-def: $vgpr32
	s_and_saveexec_b64 s[44:45], vcc
	s_cbranch_execz .LBB3_155
; %bb.154:                              ;   in Loop: Header=BB3_128 Depth=1
	s_bcnt1_i32_b64 vcc_lo, s[46:47]
	v_mov_b32_e32 v32, vcc_lo
	ds_add_rtn_u32 v32, v19, v32 offset:33032
.LBB3_155:                              ;   in Loop: Header=BB3_128 Depth=1
	s_or_b64 exec, exec, s[44:45]
	s_load_dword vcc_lo, s[40:41], 0x0
	s_waitcnt lgkmcnt(0)
	v_readfirstlane_b32 vcc_hi, v32
	v_add_u32_e32 v12, vcc_hi, v12
	v_lshl_add_u32 v12, v12, 2, vcc_lo
	ds_write_b32 v12, v10
.LBB3_156:                              ;   in Loop: Header=BB3_128 Depth=1
	s_or_b64 exec, exec, s[8:9]
	v_cmp_eq_u32_e32 vcc, v29, v11
	s_and_b64 vcc, vcc, s[30:31]
	s_and_saveexec_b64 s[8:9], vcc
	s_cbranch_execz .LBB3_127
; %bb.157:                              ;   in Loop: Header=BB3_128 Depth=1
	s_mov_b64 s[46:47], exec
	v_mbcnt_lo_u32_b32 v11, s46, 0
	v_mbcnt_hi_u32_b32 v11, s47, v11
	v_cmp_eq_u32_e32 vcc, 0, v11
                                        ; implicit-def: $vgpr12
	s_and_saveexec_b64 s[44:45], vcc
	s_cbranch_execz .LBB3_126
; %bb.158:                              ;   in Loop: Header=BB3_128 Depth=1
	s_bcnt1_i32_b64 vcc_lo, s[46:47]
	v_mov_b32_e32 v12, vcc_lo
	ds_add_rtn_u32 v12, v19, v12 offset:33024
	s_branch .LBB3_126
.LBB3_159:
	s_or_b64 exec, exec, s[28:29]
	v_cmp_gt_u32_e32 vcc, v16, v14
	s_and_saveexec_b64 s[8:9], vcc
	s_cbranch_execz .LBB3_168
; %bb.160:
	v_add_co_u32_e32 v10, vcc, v9, v15
	v_addc_co_u32_e32 v11, vcc, 0, v30, vcc
	flat_load_dword v10, v[10:11]
	v_mov_b32_e32 v11, 0
	ds_read_b32 v11, v11 offset:33028
	s_waitcnt lgkmcnt(0)
	v_readfirstlane_b32 s26, v11
	s_cmpk_lt_i32 s26, 0x801
	s_cselect_b64 s[26:27], -1, 0
	s_waitcnt vmcnt(0)
	v_cvt_f16_f32_e32 v12, v10
	v_xor_b32_e32 v11, -1, v12
	v_and_b32_e32 v11, 0x7fe0, v11
	v_cmp_gt_i16_e32 vcc, 0, v12
	v_cndmask_b32_e32 v11, v11, v12, vcc
	v_lshrrev_b16_e32 v11, 5, v11
	v_cmp_gt_u32_e32 vcc, v29, v11
	s_and_b64 vcc, vcc, s[26:27]
	s_and_saveexec_b64 s[28:29], vcc
	s_cbranch_execz .LBB3_164
; %bb.161:
	s_mov_b64 s[40:41], exec
	v_mbcnt_lo_u32_b32 v12, s40, 0
	v_mbcnt_hi_u32_b32 v12, s41, v12
	v_cmp_eq_u32_e32 vcc, 0, v12
                                        ; implicit-def: $vgpr13
	s_and_saveexec_b64 s[30:31], vcc
	s_cbranch_execz .LBB3_163
; %bb.162:
	s_bcnt1_i32_b64 vcc_lo, s[40:41]
	v_mov_b32_e32 v13, 0
	v_mov_b32_e32 v17, vcc_lo
	ds_add_rtn_u32 v13, v13, v17 offset:33032
.LBB3_163:
	s_or_b64 exec, exec, s[30:31]
	s_ashr_i32 s35, s34, 31
	s_lshl_b64 vcc, s[34:35], 2
	s_getpc_b64 s[30:31]
	s_add_u32 s30, s30, llvm.amdgcn.dynlds.offset.table@rel32@lo+4
	s_addc_u32 s31, s31, llvm.amdgcn.dynlds.offset.table@rel32@hi+12
	s_add_u32 vcc_lo, vcc_lo, s30
	s_addc_u32 vcc_hi, vcc_hi, s31
	s_load_dword vcc_lo, vcc, 0x0
	s_waitcnt lgkmcnt(0)
	v_readfirstlane_b32 vcc_hi, v13
	v_add_u32_e32 v12, vcc_hi, v12
	v_lshl_add_u32 v12, v12, 2, vcc_lo
	ds_write_b32 v12, v14
.LBB3_164:
	s_or_b64 exec, exec, s[28:29]
	v_cmp_eq_u32_e32 vcc, v29, v11
	s_and_b64 s[26:27], vcc, s[26:27]
	s_and_b64 exec, exec, s[26:27]
	s_cbranch_execz .LBB3_168
; %bb.165:
	s_mov_b64 s[28:29], exec
	v_mbcnt_lo_u32_b32 v11, s28, 0
	v_mbcnt_hi_u32_b32 v11, s29, v11
	v_cmp_eq_u32_e32 vcc, 0, v11
                                        ; implicit-def: $vgpr12
	s_and_saveexec_b64 s[26:27], vcc
	s_cbranch_execz .LBB3_167
; %bb.166:
	s_bcnt1_i32_b64 s28, s[28:29]
	v_mov_b32_e32 v12, 0
	v_mov_b32_e32 v13, s28
	ds_add_rtn_u32 v12, v12, v13 offset:33024
.LBB3_167:
	s_or_b64 exec, exec, s[26:27]
	s_waitcnt lgkmcnt(0)
	v_readfirstlane_b32 s26, v12
	v_add_lshl_u32 v11, s26, v11, 2
	ds_write2st64_b32 v11, v14, v10 offset1:32
.LBB3_168:
	s_or_b64 exec, exec, s[8:9]
	v_lshlrev_b32_e32 v10, 2, v18
	v_add3_u32 v10, v16, v14, v10
	v_cmp_lt_i32_e32 vcc, v10, v22
	s_and_saveexec_b64 s[8:9], vcc
	s_cbranch_execz .LBB3_177
; %bb.169:
	v_ashrrev_i32_e32 v11, 31, v10
	v_lshlrev_b64 v[12:13], 2, v[10:11]
	v_add_co_u32_e32 v12, vcc, v9, v12
	v_addc_co_u32_e32 v13, vcc, v30, v13, vcc
	flat_load_dword v9, v[12:13]
	v_mov_b32_e32 v11, 0
	ds_read_b32 v11, v11 offset:33028
	s_waitcnt lgkmcnt(0)
	v_readfirstlane_b32 s26, v11
	s_cmpk_lt_i32 s26, 0x801
	s_cselect_b64 s[26:27], -1, 0
	s_waitcnt vmcnt(0)
	v_cvt_f16_f32_e32 v12, v9
	v_xor_b32_e32 v11, -1, v12
	v_and_b32_e32 v11, 0x7fe0, v11
	v_cmp_gt_i16_e32 vcc, 0, v12
	v_cndmask_b32_e32 v11, v11, v12, vcc
	v_lshrrev_b16_e32 v11, 5, v11
	v_cmp_gt_u32_e32 vcc, v29, v11
	s_and_b64 vcc, vcc, s[26:27]
	s_and_saveexec_b64 s[28:29], vcc
	s_cbranch_execz .LBB3_173
; %bb.170:
	s_mov_b64 s[40:41], exec
	v_mbcnt_lo_u32_b32 v12, s40, 0
	v_mbcnt_hi_u32_b32 v12, s41, v12
	v_cmp_eq_u32_e32 vcc, 0, v12
                                        ; implicit-def: $vgpr13
	s_and_saveexec_b64 s[30:31], vcc
	s_cbranch_execz .LBB3_172
; %bb.171:
	s_bcnt1_i32_b64 vcc_lo, s[40:41]
	v_mov_b32_e32 v13, 0
	v_mov_b32_e32 v16, vcc_lo
	ds_add_rtn_u32 v13, v13, v16 offset:33032
.LBB3_172:
	s_or_b64 exec, exec, s[30:31]
	s_ashr_i32 s35, s34, 31
	s_lshl_b64 vcc, s[34:35], 2
	s_getpc_b64 s[30:31]
	s_add_u32 s30, s30, llvm.amdgcn.dynlds.offset.table@rel32@lo+4
	s_addc_u32 s31, s31, llvm.amdgcn.dynlds.offset.table@rel32@hi+12
	s_add_u32 vcc_lo, vcc_lo, s30
	s_addc_u32 vcc_hi, vcc_hi, s31
	s_load_dword vcc_lo, vcc, 0x0
	s_waitcnt lgkmcnt(0)
	v_readfirstlane_b32 vcc_hi, v13
	v_add_u32_e32 v12, vcc_hi, v12
	v_lshl_add_u32 v12, v12, 2, vcc_lo
	ds_write_b32 v12, v10
.LBB3_173:
	s_or_b64 exec, exec, s[28:29]
	v_cmp_eq_u32_e32 vcc, v29, v11
	s_and_b64 s[26:27], vcc, s[26:27]
	s_and_b64 exec, exec, s[26:27]
	s_cbranch_execz .LBB3_177
; %bb.174:
	s_mov_b64 s[28:29], exec
	v_mbcnt_lo_u32_b32 v11, s28, 0
	v_mbcnt_hi_u32_b32 v11, s29, v11
	v_cmp_eq_u32_e32 vcc, 0, v11
                                        ; implicit-def: $vgpr12
	s_and_saveexec_b64 s[26:27], vcc
	s_cbranch_execz .LBB3_176
; %bb.175:
	s_bcnt1_i32_b64 s28, s[28:29]
	v_mov_b32_e32 v12, 0
	v_mov_b32_e32 v13, s28
	ds_add_rtn_u32 v12, v12, v13 offset:33024
.LBB3_176:
	s_or_b64 exec, exec, s[26:27]
	s_waitcnt lgkmcnt(0)
	v_readfirstlane_b32 s26, v12
	v_add_lshl_u32 v11, s26, v11, 2
	ds_write2st64_b32 v11, v10, v9 offset1:32
.LBB3_177:
	s_or_b64 exec, exec, s[8:9]
.LBB3_178:
	s_or_b64 exec, exec, s[24:25]
	v_mov_b32_e32 v9, 0
	s_waitcnt lgkmcnt(0)
	s_barrier
	ds_read_b32 v10, v9 offset:33028
	s_movk_i32 s8, 0x801
	s_waitcnt lgkmcnt(0)
	v_cmp_gt_i32_e32 vcc, s8, v10
	s_mov_b64 s[8:9], 0
	s_cbranch_vccnz .LBB3_337
; %bb.179:
	ds_write_b32 v15, v9 offset:2112
	ds_write_b32 v24, v9 offset:2048
	s_and_saveexec_b64 s[8:9], s[20:21]
	s_cbranch_execz .LBB3_181
; %bb.180:
	v_mov_b32_e32 v9, 0
	ds_write_b32 v24, v9 offset:4096
.LBB3_181:
	s_or_b64 exec, exec, s[8:9]
	s_and_saveexec_b64 s[8:9], s[18:19]
	s_cbranch_execz .LBB3_183
; %bb.182:
	v_mov_b32_e32 v9, 0
	ds_write_b32 v24, v9 offset:6144
.LBB3_183:
	s_or_b64 exec, exec, s[8:9]
	s_waitcnt lgkmcnt(0)
	s_barrier
	s_and_saveexec_b64 s[8:9], s[6:7]
	s_xor_b64 s[8:9], exec, s[8:9]
	s_cbranch_execz .LBB3_188
; %bb.184:
	v_add_u32_e32 v9, v14, v2
	v_cmp_lt_i32_e32 vcc, v9, v8
	s_and_saveexec_b64 s[24:25], vcc
	s_cbranch_execz .LBB3_187
; %bb.185:
	v_mul_lo_u32 v10, v6, v9
	v_lshlrev_b32_e32 v12, 9, v6
	s_mov_b64 s[26:27], 0
	v_mov_b32_e32 v13, 1
.LBB3_186:                              ; =>This Inner Loop Header: Depth=1
	v_ashrrev_i32_e32 v11, 31, v10
	v_lshlrev_b64 v[16:17], 2, v[10:11]
	v_add_co_u32_e32 v16, vcc, v0, v16
	v_addc_co_u32_e32 v17, vcc, v1, v17, vcc
	flat_load_dword v11, v[16:17]
	v_add_u32_e32 v9, 0x200, v9
	v_add_u32_e32 v10, v10, v12
	s_waitcnt vmcnt(0) lgkmcnt(0)
	v_not_b32_e32 v16, v11
	v_and_b32_e32 v16, 0x7fe00000, v16
	v_cmp_gt_i32_e32 vcc, 0, v11
	v_cndmask_b32_e32 v11, v16, v11, vcc
	v_lshrrev_b32_e32 v11, 19, v11
	v_and_b32_e32 v11, 0x1ffc, v11
	ds_add_u32 v11, v13 offset:2112
	v_cmp_ge_i32_e32 vcc, v9, v8
	s_or_b64 s[26:27], vcc, s[26:27]
	s_andn2_b64 exec, exec, s[26:27]
	s_cbranch_execnz .LBB3_186
.LBB3_187:
	s_or_b64 exec, exec, s[24:25]
.LBB3_188:
	s_andn2_saveexec_b64 s[40:41], s[8:9]
	s_cbranch_execz .LBB3_197
; %bb.189:
	v_lshlrev_b64 v[12:13], 2, v[2:3]
	v_add_co_u32_e32 v9, vcc, v0, v12
	v_and_b32_e32 v10, 15, v9
	v_addc_co_u32_e32 v16, vcc, v1, v13, vcc
	v_mov_b32_e32 v11, 0
	v_sub_u32_e32 v17, 16, v10
	v_lshrrev_b32_e32 v17, 2, v17
	v_cmp_ne_u64_e32 vcc, 0, v[10:11]
	v_cndmask_b32_e32 v10, 0, v17, vcc
	v_min_i32_e32 v10, v10, v22
	v_sub_u32_e32 v17, v22, v10
	v_ashrrev_i32_e32 v18, 31, v17
	v_lshrrev_b32_e32 v18, 30, v18
	v_add_u32_e32 v17, v17, v18
	v_ashrrev_i32_e32 v17, 2, v17
	s_mov_b64 s[42:43], 0
	v_ashrrev_i32_e32 v11, 31, v10
	v_cmp_gt_i32_e32 vcc, v17, v14
	s_and_saveexec_b64 s[44:45], vcc
	s_cbranch_execz .LBB3_192
; %bb.190:
	v_lshlrev_b32_e32 v20, 4, v14
	v_lshlrev_b64 v[18:19], 2, v[10:11]
	v_add_co_u32_e32 v11, vcc, v20, v18
	v_addc_co_u32_e32 v18, vcc, 0, v19, vcc
	v_add_co_u32_e32 v11, vcc, v11, v12
	v_addc_co_u32_e32 v13, vcc, v18, v13, vcc
	;; [unrolled: 2-line block ×3, first 2 shown]
	v_mov_b32_e32 v11, 1
	v_mov_b32_e32 v18, v14
.LBB3_191:                              ; =>This Inner Loop Header: Depth=1
	flat_load_dwordx4 v[30:33], v[12:13]
	v_add_u32_e32 v18, 0x200, v18
	v_add_co_u32_e32 v12, vcc, 0x2000, v12
	v_cmp_ge_i32_e64 s[8:9], v18, v17
	s_or_b64 s[42:43], s[8:9], s[42:43]
	v_addc_co_u32_e32 v13, vcc, 0, v13, vcc
	s_waitcnt vmcnt(0) lgkmcnt(0)
	v_not_b32_e32 v19, v30
	v_not_b32_e32 v20, v31
	;; [unrolled: 1-line block ×4, first 2 shown]
	v_and_b32_e32 v19, 0x7fe00000, v19
	v_cmp_gt_i32_e64 s[30:31], 0, v30
	v_and_b32_e32 v20, 0x7fe00000, v20
	v_cmp_gt_i32_e64 s[24:25], 0, v31
	;; [unrolled: 2-line block ×4, first 2 shown]
	v_cndmask_b32_e64 v19, v19, v30, s[30:31]
	v_cndmask_b32_e64 v20, v20, v31, s[24:25]
	;; [unrolled: 1-line block ×4, first 2 shown]
	v_lshrrev_b32_e32 v19, 19, v19
	v_lshrrev_b32_e32 v20, 19, v20
	;; [unrolled: 1-line block ×4, first 2 shown]
	v_and_b32_e32 v19, 0x1ffc, v19
	v_and_b32_e32 v20, 0x1ffc, v20
	;; [unrolled: 1-line block ×4, first 2 shown]
	ds_add_u32 v19, v11 offset:2112
	ds_add_u32 v20, v11 offset:2112
	;; [unrolled: 1-line block ×4, first 2 shown]
	s_andn2_b64 exec, exec, s[42:43]
	s_cbranch_execnz .LBB3_191
.LBB3_192:
	s_or_b64 exec, exec, s[44:45]
	v_cmp_gt_u32_e32 vcc, v10, v14
	s_and_saveexec_b64 s[8:9], vcc
	s_cbranch_execz .LBB3_194
; %bb.193:
	v_add_co_u32_e32 v12, vcc, v9, v15
	v_addc_co_u32_e32 v13, vcc, 0, v16, vcc
	flat_load_dword v11, v[12:13]
	s_waitcnt vmcnt(0) lgkmcnt(0)
	v_not_b32_e32 v12, v11
	v_and_b32_e32 v12, 0x7fe00000, v12
	v_cmp_gt_i32_e32 vcc, 0, v11
	v_cndmask_b32_e32 v11, v12, v11, vcc
	v_lshrrev_b32_e32 v11, 19, v11
	v_and_b32_e32 v11, 0x1ffc, v11
	v_mov_b32_e32 v12, 1
	ds_add_u32 v11, v12 offset:2112
.LBB3_194:
	s_or_b64 exec, exec, s[8:9]
	v_lshlrev_b32_e32 v11, 2, v17
	v_add3_u32 v10, v10, v14, v11
	v_cmp_lt_i32_e32 vcc, v10, v22
	s_and_saveexec_b64 s[8:9], vcc
	s_cbranch_execz .LBB3_196
; %bb.195:
	v_ashrrev_i32_e32 v11, 31, v10
	v_lshlrev_b64 v[10:11], 2, v[10:11]
	v_add_co_u32_e32 v10, vcc, v9, v10
	v_addc_co_u32_e32 v11, vcc, v16, v11, vcc
	flat_load_dword v9, v[10:11]
	s_waitcnt vmcnt(0) lgkmcnt(0)
	v_not_b32_e32 v10, v9
	v_and_b32_e32 v10, 0x7fe00000, v10
	v_cmp_gt_i32_e32 vcc, 0, v9
	v_cndmask_b32_e32 v9, v10, v9, vcc
	v_lshrrev_b32_e32 v9, 19, v9
	v_and_b32_e32 v9, 0x1ffc, v9
	v_mov_b32_e32 v10, 1
	ds_add_u32 v9, v10 offset:2112
.LBB3_196:
	s_or_b64 exec, exec, s[8:9]
.LBB3_197:
	s_or_b64 exec, exec, s[40:41]
	s_waitcnt lgkmcnt(0)
	s_barrier
	v_mov_b32_e32 v10, 0
	ds_read_b32 v11, v15 offset:2112
	ds_read_b32 v9, v10 offset:33032
	s_waitcnt lgkmcnt(0)
	s_barrier
	ds_write_b32 v27, v11
	s_waitcnt lgkmcnt(0)
	s_barrier
	s_and_saveexec_b64 s[8:9], s[12:13]
	s_cbranch_execz .LBB3_199
; %bb.198:
	ds_read2_b32 v[12:13], v25 offset1:1
	ds_read2_b32 v[16:17], v25 offset0:2 offset1:3
	ds_read2_b32 v[18:19], v25 offset0:4 offset1:5
	;; [unrolled: 1-line block ×3, first 2 shown]
	v_mbcnt_lo_u32_b32 v29, -1, 0
	s_waitcnt lgkmcnt(3)
	v_add_u32_e32 v30, v13, v12
	s_waitcnt lgkmcnt(2)
	v_add3_u32 v30, v30, v16, v17
	s_waitcnt lgkmcnt(1)
	v_add3_u32 v30, v30, v18, v19
	v_mbcnt_hi_u32_b32 v29, -1, v29
	s_waitcnt lgkmcnt(0)
	v_add3_u32 v30, v30, v20, v21
	v_and_b32_e32 v31, 15, v29
	v_cmp_ne_u32_e32 vcc, 0, v31
	v_mov_b32_dpp v32, v30 row_shr:1 row_mask:0xf bank_mask:0xf
	v_cndmask_b32_e32 v32, 0, v32, vcc
	v_add_u32_e32 v30, v32, v30
	v_cmp_lt_u32_e32 vcc, 1, v31
	s_nop 0
	v_mov_b32_dpp v32, v30 row_shr:2 row_mask:0xf bank_mask:0xf
	v_cndmask_b32_e32 v32, 0, v32, vcc
	v_add_u32_e32 v30, v30, v32
	v_cmp_lt_u32_e32 vcc, 3, v31
	s_nop 0
	;; [unrolled: 5-line block ×3, first 2 shown]
	v_mov_b32_dpp v32, v30 row_shr:8 row_mask:0xf bank_mask:0xf
	v_cndmask_b32_e32 v31, 0, v32, vcc
	v_add_u32_e32 v30, v30, v31
	v_bfe_i32 v32, v29, 4, 1
	v_cmp_lt_u32_e32 vcc, 31, v29
	v_mov_b32_dpp v31, v30 row_bcast:15 row_mask:0xf bank_mask:0xf
	v_and_b32_e32 v31, v32, v31
	v_add_u32_e32 v30, v30, v31
	v_and_b32_e32 v32, 64, v29
	s_nop 0
	v_mov_b32_dpp v31, v30 row_bcast:31 row_mask:0xf bank_mask:0xf
	v_cndmask_b32_e32 v31, 0, v31, vcc
	v_add_u32_e32 v30, v30, v31
	v_add_u32_e32 v31, -1, v29
	v_cmp_lt_i32_e32 vcc, v31, v32
	v_cndmask_b32_e32 v29, v31, v29, vcc
	v_lshlrev_b32_e32 v29, 2, v29
	ds_bpermute_b32 v29, v29, v30
	s_waitcnt lgkmcnt(0)
	v_add_u32_e32 v12, v29, v12
	v_cndmask_b32_e64 v11, v12, v11, s[10:11]
	v_add_u32_e32 v12, v11, v13
	ds_write2_b32 v25, v11, v12 offset1:1
	v_add_u32_e32 v11, v12, v16
	v_add_u32_e32 v12, v11, v17
	ds_write2_b32 v25, v11, v12 offset0:2 offset1:3
	v_add_u32_e32 v11, v12, v18
	v_add_u32_e32 v12, v11, v19
	ds_write2_b32 v25, v11, v12 offset0:4 offset1:5
	;; [unrolled: 3-line block ×3, first 2 shown]
.LBB3_199:
	s_or_b64 exec, exec, s[8:9]
	s_waitcnt lgkmcnt(0)
	s_barrier
	s_and_saveexec_b64 s[8:9], s[22:23]
	s_cbranch_execz .LBB3_201
; %bb.200:
	ds_read_b32 v10, v26
.LBB3_201:
	s_or_b64 exec, exec, s[8:9]
	v_mov_b32_e32 v11, 0
	ds_read_b32 v12, v11 offset:2104
	s_waitcnt lgkmcnt(1)
	v_add_u32_e32 v10, v10, v9
	v_cmp_lt_i32_e32 vcc, v10, v7
	ds_write_b32 v15, v10 offset:2112
	s_waitcnt lgkmcnt(0)
	v_add_u32_e32 v9, v12, v9
	s_barrier
	s_and_saveexec_b64 s[8:9], vcc
	s_cbranch_execz .LBB3_207
; %bb.202:
	v_mov_b32_e32 v12, v9
	s_and_saveexec_b64 s[24:25], s[14:15]
	s_cbranch_execz .LBB3_204
; %bb.203:
	ds_read_b32 v12, v24 offset:4
.LBB3_204:
	s_or_b64 exec, exec, s[24:25]
	s_waitcnt lgkmcnt(0)
	v_cmp_ge_i32_e32 vcc, v12, v7
	v_mov_b32_e32 v11, 0
	s_and_saveexec_b64 s[24:25], vcc
	s_cbranch_execz .LBB3_206
; %bb.205:
	s_mov_b32 s26, 0x8000
	v_sub_u32_e32 v10, v12, v10
	v_add_u32_e64 v11, s26, 0
	ds_write2_b32 v11, v10, v14 offset0:65 offset1:67
	v_mov_b32_e32 v11, 1
.LBB3_206:
	s_or_b64 exec, exec, s[24:25]
.LBB3_207:
	s_or_b64 exec, exec, s[8:9]
	v_or_b32_dpp v10, v11, v11 row_shl:1 row_mask:0xf bank_mask:0xf bound_ctrl:1
	s_bitcmp1_b32 exec_hi, 0
	s_nop 0
	v_or_b32_dpp v10, v10, v10 row_shl:2 row_mask:0xf bank_mask:0xf bound_ctrl:1
	s_nop 1
	v_or_b32_dpp v10, v10, v10 row_shl:4 row_mask:0xf bank_mask:0xf bound_ctrl:1
	;; [unrolled: 2-line block ×3, first 2 shown]
	s_nop 1
	v_mov_b32_dpp v11, v10 wave_shl:1 row_mask:0xf bank_mask:0xf bound_ctrl:1
	s_nop 1
	v_or_b32_dpp v10, v11, v10 row_mirror row_mask:0xf bank_mask:0xf bound_ctrl:1
	v_readlane_b32 s8, v10, 32
	s_cselect_b32 s8, s8, 0
	v_readlane_b32 s9, v10, 0
	s_or_b32 s26, s8, s9
	v_cndmask_b32_e64 v10, 0, 1, s[38:39]
	v_cmp_ne_u32_e64 s[8:9], 1, v10
	s_andn2_b64 vcc, exec, s[38:39]
	v_mov_b32_e32 v10, s26
	s_cbranch_vccnz .LBB3_214
; %bb.208:
	v_mbcnt_lo_u32_b32 v10, -1, 0
	v_mbcnt_hi_u32_b32 v10, -1, v10
	v_or_b32_e32 v11, v10, v28
	v_cmp_eq_u32_e32 vcc, 0, v11
	s_and_saveexec_b64 s[24:25], vcc
	s_cbranch_execz .LBB3_210
; %bb.209:
	v_mov_b32_e32 v11, 0
	v_mov_b32_e32 v12, s26
	ds_write_b32 v11, v12 offset:32768
.LBB3_210:
	s_or_b64 exec, exec, s[24:25]
	v_cmp_eq_u32_e32 vcc, 0, v10
	s_and_b64 s[28:29], s[16:17], vcc
	s_waitcnt lgkmcnt(0)
	s_barrier
	s_and_saveexec_b64 s[24:25], s[28:29]
	s_cbranch_execz .LBB3_213
; %bb.211:
	v_mbcnt_lo_u32_b32 v10, exec_lo, 0
	v_mbcnt_hi_u32_b32 v10, exec_hi, v10
	v_cmp_eq_u32_e32 vcc, 0, v10
	s_and_b64 exec, exec, vcc
	s_cbranch_execz .LBB3_213
; %bb.212:
	v_mov_b32_e32 v10, 0
	v_mov_b32_e32 v11, s26
	ds_or_b32 v10, v11 offset:32768
.LBB3_213:
	s_or_b64 exec, exec, s[24:25]
	v_mov_b32_e32 v10, 0
	s_waitcnt lgkmcnt(0)
	s_barrier
	ds_read_b32 v10, v10 offset:32768
	s_waitcnt lgkmcnt(0)
	s_barrier
.LBB3_214:
	v_cmp_eq_u32_e32 vcc, 0, v10
	s_cbranch_vccz .LBB3_268
; %bb.215:
	ds_read_b32 v10, v24 offset:2048
	s_waitcnt lgkmcnt(0)
	s_barrier
	ds_write_b32 v27, v10
	s_waitcnt lgkmcnt(0)
	s_barrier
	s_and_saveexec_b64 s[24:25], s[12:13]
	s_cbranch_execz .LBB3_217
; %bb.216:
	ds_read2_b32 v[12:13], v25 offset1:1
	ds_read2_b32 v[16:17], v25 offset0:2 offset1:3
	ds_read2_b32 v[18:19], v25 offset0:4 offset1:5
	;; [unrolled: 1-line block ×3, first 2 shown]
	v_mbcnt_lo_u32_b32 v11, -1, 0
	s_waitcnt lgkmcnt(3)
	v_add_u32_e32 v29, v13, v12
	s_waitcnt lgkmcnt(2)
	v_add3_u32 v29, v29, v16, v17
	s_waitcnt lgkmcnt(1)
	v_add3_u32 v29, v29, v18, v19
	v_mbcnt_hi_u32_b32 v11, -1, v11
	s_waitcnt lgkmcnt(0)
	v_add3_u32 v29, v29, v20, v21
	v_and_b32_e32 v30, 15, v11
	v_cmp_ne_u32_e32 vcc, 0, v30
	v_mov_b32_dpp v31, v29 row_shr:1 row_mask:0xf bank_mask:0xf
	v_cndmask_b32_e32 v31, 0, v31, vcc
	v_add_u32_e32 v29, v31, v29
	v_cmp_lt_u32_e32 vcc, 1, v30
	s_nop 0
	v_mov_b32_dpp v31, v29 row_shr:2 row_mask:0xf bank_mask:0xf
	v_cndmask_b32_e32 v31, 0, v31, vcc
	v_add_u32_e32 v29, v29, v31
	v_cmp_lt_u32_e32 vcc, 3, v30
	s_nop 0
	;; [unrolled: 5-line block ×3, first 2 shown]
	v_mov_b32_dpp v31, v29 row_shr:8 row_mask:0xf bank_mask:0xf
	v_cndmask_b32_e32 v30, 0, v31, vcc
	v_add_u32_e32 v29, v29, v30
	v_bfe_i32 v31, v11, 4, 1
	v_cmp_lt_u32_e32 vcc, 31, v11
	v_mov_b32_dpp v30, v29 row_bcast:15 row_mask:0xf bank_mask:0xf
	v_and_b32_e32 v30, v31, v30
	v_add_u32_e32 v29, v29, v30
	v_and_b32_e32 v31, 64, v11
	s_nop 0
	v_mov_b32_dpp v30, v29 row_bcast:31 row_mask:0xf bank_mask:0xf
	v_cndmask_b32_e32 v30, 0, v30, vcc
	v_add_u32_e32 v29, v29, v30
	v_add_u32_e32 v30, -1, v11
	v_cmp_lt_i32_e32 vcc, v30, v31
	v_cndmask_b32_e32 v11, v30, v11, vcc
	v_lshlrev_b32_e32 v11, 2, v11
	ds_bpermute_b32 v11, v11, v29
	s_waitcnt lgkmcnt(0)
	v_add_u32_e32 v11, v11, v12
	v_cndmask_b32_e64 v10, v11, v10, s[10:11]
	v_add_u32_e32 v11, v10, v13
	ds_write2_b32 v25, v10, v11 offset1:1
	v_add_u32_e32 v10, v11, v16
	v_add_u32_e32 v11, v10, v17
	ds_write2_b32 v25, v10, v11 offset0:2 offset1:3
	v_add_u32_e32 v10, v11, v18
	v_add_u32_e32 v11, v10, v19
	ds_write2_b32 v25, v10, v11 offset0:4 offset1:5
	;; [unrolled: 3-line block ×3, first 2 shown]
.LBB3_217:
	s_or_b64 exec, exec, s[24:25]
	v_mov_b32_e32 v10, 0
	v_mov_b32_e32 v11, 0
	s_waitcnt lgkmcnt(0)
	s_barrier
	s_and_saveexec_b64 s[24:25], s[22:23]
	s_cbranch_execz .LBB3_219
; %bb.218:
	ds_read_b32 v11, v26
.LBB3_219:
	s_or_b64 exec, exec, s[24:25]
	ds_read_b32 v12, v10 offset:2104
	s_waitcnt lgkmcnt(1)
	v_add_u32_e32 v11, v11, v9
	v_cmp_lt_i32_e32 vcc, v11, v7
	ds_write_b32 v24, v11 offset:2048
	s_waitcnt lgkmcnt(0)
	v_add_u32_e32 v9, v12, v9
	s_barrier
	s_and_saveexec_b64 s[24:25], vcc
	s_cbranch_execz .LBB3_225
; %bb.220:
	v_mov_b32_e32 v12, v9
	s_and_saveexec_b64 s[26:27], s[14:15]
	s_cbranch_execz .LBB3_222
; %bb.221:
	ds_read_b32 v12, v24 offset:2052
.LBB3_222:
	s_or_b64 exec, exec, s[26:27]
	s_waitcnt lgkmcnt(0)
	v_cmp_ge_i32_e32 vcc, v12, v7
	v_mov_b32_e32 v10, 0
	s_and_saveexec_b64 s[26:27], vcc
	s_cbranch_execz .LBB3_224
; %bb.223:
	s_mov_b32 s28, 0x8000
	v_add_u32_e32 v10, 0x200, v14
	v_sub_u32_e32 v11, v12, v11
	v_add_u32_e64 v12, s28, 0
	ds_write2_b32 v12, v11, v10 offset0:65 offset1:67
	v_mov_b32_e32 v10, 1
.LBB3_224:
	s_or_b64 exec, exec, s[26:27]
.LBB3_225:
	s_or_b64 exec, exec, s[24:25]
	v_or_b32_dpp v10, v10, v10 row_shl:1 row_mask:0xf bank_mask:0xf bound_ctrl:1
	s_bitcmp1_b32 exec_hi, 0
	s_nop 0
	v_or_b32_dpp v10, v10, v10 row_shl:2 row_mask:0xf bank_mask:0xf bound_ctrl:1
	s_nop 1
	v_or_b32_dpp v10, v10, v10 row_shl:4 row_mask:0xf bank_mask:0xf bound_ctrl:1
	;; [unrolled: 2-line block ×3, first 2 shown]
	s_nop 1
	v_mov_b32_dpp v11, v10 wave_shl:1 row_mask:0xf bank_mask:0xf bound_ctrl:1
	s_nop 1
	v_or_b32_dpp v10, v11, v10 row_mirror row_mask:0xf bank_mask:0xf bound_ctrl:1
	v_readlane_b32 s24, v10, 32
	s_cselect_b32 s24, s24, 0
	v_readlane_b32 s25, v10, 0
	s_or_b32 s26, s24, s25
	s_and_b64 vcc, exec, s[8:9]
	v_mov_b32_e32 v10, s26
	s_cbranch_vccnz .LBB3_232
; %bb.226:
	v_mbcnt_lo_u32_b32 v10, -1, 0
	v_mbcnt_hi_u32_b32 v10, -1, v10
	v_or_b32_e32 v11, v10, v28
	v_cmp_eq_u32_e32 vcc, 0, v11
	s_and_saveexec_b64 s[24:25], vcc
	s_cbranch_execz .LBB3_228
; %bb.227:
	v_mov_b32_e32 v11, 0
	v_mov_b32_e32 v12, s26
	ds_write_b32 v11, v12 offset:32768
.LBB3_228:
	s_or_b64 exec, exec, s[24:25]
	v_cmp_eq_u32_e32 vcc, 0, v10
	s_and_b64 s[28:29], s[16:17], vcc
	s_waitcnt lgkmcnt(0)
	s_barrier
	s_and_saveexec_b64 s[24:25], s[28:29]
	s_cbranch_execz .LBB3_231
; %bb.229:
	v_mbcnt_lo_u32_b32 v10, exec_lo, 0
	v_mbcnt_hi_u32_b32 v10, exec_hi, v10
	v_cmp_eq_u32_e32 vcc, 0, v10
	s_and_b64 exec, exec, vcc
	s_cbranch_execz .LBB3_231
; %bb.230:
	v_mov_b32_e32 v10, 0
	v_mov_b32_e32 v11, s26
	ds_or_b32 v10, v11 offset:32768
.LBB3_231:
	s_or_b64 exec, exec, s[24:25]
	v_mov_b32_e32 v10, 0
	s_waitcnt lgkmcnt(0)
	s_barrier
	ds_read_b32 v10, v10 offset:32768
	s_waitcnt lgkmcnt(0)
	s_barrier
.LBB3_232:
	v_cmp_ne_u32_e32 vcc, 0, v10
	s_cbranch_vccnz .LBB3_268
; %bb.233:
	ds_read_b32 v10, v24 offset:4096
	s_waitcnt lgkmcnt(0)
	s_barrier
	ds_write_b32 v27, v10
	s_waitcnt lgkmcnt(0)
	s_barrier
	s_and_saveexec_b64 s[24:25], s[12:13]
	s_cbranch_execz .LBB3_235
; %bb.234:
	ds_read2_b32 v[12:13], v25 offset1:1
	ds_read2_b32 v[16:17], v25 offset0:2 offset1:3
	ds_read2_b32 v[18:19], v25 offset0:4 offset1:5
	;; [unrolled: 1-line block ×3, first 2 shown]
	v_mbcnt_lo_u32_b32 v11, -1, 0
	s_waitcnt lgkmcnt(3)
	v_add_u32_e32 v29, v13, v12
	s_waitcnt lgkmcnt(2)
	v_add3_u32 v29, v29, v16, v17
	s_waitcnt lgkmcnt(1)
	v_add3_u32 v29, v29, v18, v19
	v_mbcnt_hi_u32_b32 v11, -1, v11
	s_waitcnt lgkmcnt(0)
	v_add3_u32 v29, v29, v20, v21
	v_and_b32_e32 v30, 15, v11
	v_cmp_ne_u32_e32 vcc, 0, v30
	v_mov_b32_dpp v31, v29 row_shr:1 row_mask:0xf bank_mask:0xf
	v_cndmask_b32_e32 v31, 0, v31, vcc
	v_add_u32_e32 v29, v31, v29
	v_cmp_lt_u32_e32 vcc, 1, v30
	s_nop 0
	v_mov_b32_dpp v31, v29 row_shr:2 row_mask:0xf bank_mask:0xf
	v_cndmask_b32_e32 v31, 0, v31, vcc
	v_add_u32_e32 v29, v29, v31
	v_cmp_lt_u32_e32 vcc, 3, v30
	s_nop 0
	;; [unrolled: 5-line block ×3, first 2 shown]
	v_mov_b32_dpp v31, v29 row_shr:8 row_mask:0xf bank_mask:0xf
	v_cndmask_b32_e32 v30, 0, v31, vcc
	v_add_u32_e32 v29, v29, v30
	v_bfe_i32 v31, v11, 4, 1
	v_cmp_lt_u32_e32 vcc, 31, v11
	v_mov_b32_dpp v30, v29 row_bcast:15 row_mask:0xf bank_mask:0xf
	v_and_b32_e32 v30, v31, v30
	v_add_u32_e32 v29, v29, v30
	v_and_b32_e32 v31, 64, v11
	s_nop 0
	v_mov_b32_dpp v30, v29 row_bcast:31 row_mask:0xf bank_mask:0xf
	v_cndmask_b32_e32 v30, 0, v30, vcc
	v_add_u32_e32 v29, v29, v30
	v_add_u32_e32 v30, -1, v11
	v_cmp_lt_i32_e32 vcc, v30, v31
	v_cndmask_b32_e32 v11, v30, v11, vcc
	v_lshlrev_b32_e32 v11, 2, v11
	ds_bpermute_b32 v11, v11, v29
	s_waitcnt lgkmcnt(0)
	v_add_u32_e32 v11, v11, v12
	v_cndmask_b32_e64 v10, v11, v10, s[10:11]
	v_add_u32_e32 v11, v10, v13
	ds_write2_b32 v25, v10, v11 offset1:1
	v_add_u32_e32 v10, v11, v16
	v_add_u32_e32 v11, v10, v17
	ds_write2_b32 v25, v10, v11 offset0:2 offset1:3
	v_add_u32_e32 v10, v11, v18
	v_add_u32_e32 v11, v10, v19
	ds_write2_b32 v25, v10, v11 offset0:4 offset1:5
	;; [unrolled: 3-line block ×3, first 2 shown]
.LBB3_235:
	s_or_b64 exec, exec, s[24:25]
	v_mov_b32_e32 v10, 0
	v_mov_b32_e32 v11, 0
	s_waitcnt lgkmcnt(0)
	s_barrier
	s_and_saveexec_b64 s[24:25], s[22:23]
	s_cbranch_execz .LBB3_237
; %bb.236:
	ds_read_b32 v11, v26
.LBB3_237:
	s_or_b64 exec, exec, s[24:25]
	ds_read_b32 v12, v10 offset:2104
	s_waitcnt lgkmcnt(1)
	v_add_u32_e32 v11, v11, v9
	v_cmp_lt_i32_e32 vcc, v11, v7
	ds_write_b32 v24, v11 offset:4096
	s_waitcnt lgkmcnt(0)
	v_add_u32_e32 v9, v12, v9
	s_barrier
	s_and_saveexec_b64 s[24:25], vcc
	s_cbranch_execz .LBB3_243
; %bb.238:
	v_mov_b32_e32 v12, v9
	s_and_saveexec_b64 s[26:27], s[14:15]
	s_cbranch_execz .LBB3_240
; %bb.239:
	ds_read_b32 v12, v24 offset:4100
.LBB3_240:
	s_or_b64 exec, exec, s[26:27]
	s_waitcnt lgkmcnt(0)
	v_cmp_ge_i32_e32 vcc, v12, v7
	v_mov_b32_e32 v10, 0
	s_and_saveexec_b64 s[26:27], vcc
	s_cbranch_execz .LBB3_242
; %bb.241:
	s_mov_b32 s28, 0x8000
	v_or_b32_e32 v10, 0x400, v14
	v_sub_u32_e32 v11, v12, v11
	v_add_u32_e64 v12, s28, 0
	ds_write2_b32 v12, v11, v10 offset0:65 offset1:67
	v_mov_b32_e32 v10, 1
.LBB3_242:
	s_or_b64 exec, exec, s[26:27]
.LBB3_243:
	s_or_b64 exec, exec, s[24:25]
	v_or_b32_dpp v10, v10, v10 row_shl:1 row_mask:0xf bank_mask:0xf bound_ctrl:1
	s_bitcmp1_b32 exec_hi, 0
	s_nop 0
	v_or_b32_dpp v10, v10, v10 row_shl:2 row_mask:0xf bank_mask:0xf bound_ctrl:1
	s_nop 1
	v_or_b32_dpp v10, v10, v10 row_shl:4 row_mask:0xf bank_mask:0xf bound_ctrl:1
	;; [unrolled: 2-line block ×3, first 2 shown]
	s_nop 1
	v_mov_b32_dpp v11, v10 wave_shl:1 row_mask:0xf bank_mask:0xf bound_ctrl:1
	s_nop 1
	v_or_b32_dpp v10, v11, v10 row_mirror row_mask:0xf bank_mask:0xf bound_ctrl:1
	v_readlane_b32 s24, v10, 32
	s_cselect_b32 s24, s24, 0
	v_readlane_b32 s25, v10, 0
	s_or_b32 s26, s24, s25
	s_and_b64 vcc, exec, s[8:9]
	v_mov_b32_e32 v10, s26
	s_cbranch_vccnz .LBB3_250
; %bb.244:
	v_mbcnt_lo_u32_b32 v10, -1, 0
	v_mbcnt_hi_u32_b32 v10, -1, v10
	v_or_b32_e32 v11, v10, v28
	v_cmp_eq_u32_e32 vcc, 0, v11
	s_and_saveexec_b64 s[24:25], vcc
	s_cbranch_execz .LBB3_246
; %bb.245:
	v_mov_b32_e32 v11, 0
	v_mov_b32_e32 v12, s26
	ds_write_b32 v11, v12 offset:32768
.LBB3_246:
	s_or_b64 exec, exec, s[24:25]
	v_cmp_eq_u32_e32 vcc, 0, v10
	s_and_b64 s[28:29], s[16:17], vcc
	s_waitcnt lgkmcnt(0)
	s_barrier
	s_and_saveexec_b64 s[24:25], s[28:29]
	s_cbranch_execz .LBB3_249
; %bb.247:
	v_mbcnt_lo_u32_b32 v10, exec_lo, 0
	v_mbcnt_hi_u32_b32 v10, exec_hi, v10
	v_cmp_eq_u32_e32 vcc, 0, v10
	s_and_b64 exec, exec, vcc
	s_cbranch_execz .LBB3_249
; %bb.248:
	v_mov_b32_e32 v10, 0
	v_mov_b32_e32 v11, s26
	ds_or_b32 v10, v11 offset:32768
.LBB3_249:
	s_or_b64 exec, exec, s[24:25]
	v_mov_b32_e32 v10, 0
	s_waitcnt lgkmcnt(0)
	s_barrier
	ds_read_b32 v10, v10 offset:32768
	s_waitcnt lgkmcnt(0)
	s_barrier
.LBB3_250:
	v_cmp_ne_u32_e32 vcc, 0, v10
	s_cbranch_vccnz .LBB3_268
; %bb.251:
	ds_read_b32 v10, v24 offset:6144
	s_waitcnt lgkmcnt(0)
	s_barrier
	ds_write_b32 v27, v10
	s_waitcnt lgkmcnt(0)
	s_barrier
	s_and_saveexec_b64 s[24:25], s[12:13]
	s_cbranch_execz .LBB3_253
; %bb.252:
	ds_read2_b32 v[12:13], v25 offset1:1
	ds_read2_b32 v[16:17], v25 offset0:2 offset1:3
	ds_read2_b32 v[18:19], v25 offset0:4 offset1:5
	;; [unrolled: 1-line block ×3, first 2 shown]
	v_mbcnt_lo_u32_b32 v11, -1, 0
	s_waitcnt lgkmcnt(3)
	v_add_u32_e32 v29, v13, v12
	s_waitcnt lgkmcnt(2)
	v_add3_u32 v29, v29, v16, v17
	s_waitcnt lgkmcnt(1)
	v_add3_u32 v29, v29, v18, v19
	v_mbcnt_hi_u32_b32 v11, -1, v11
	s_waitcnt lgkmcnt(0)
	v_add3_u32 v29, v29, v20, v21
	v_and_b32_e32 v30, 15, v11
	v_cmp_ne_u32_e32 vcc, 0, v30
	v_mov_b32_dpp v31, v29 row_shr:1 row_mask:0xf bank_mask:0xf
	v_cndmask_b32_e32 v31, 0, v31, vcc
	v_add_u32_e32 v29, v31, v29
	v_cmp_lt_u32_e32 vcc, 1, v30
	s_nop 0
	v_mov_b32_dpp v31, v29 row_shr:2 row_mask:0xf bank_mask:0xf
	v_cndmask_b32_e32 v31, 0, v31, vcc
	v_add_u32_e32 v29, v29, v31
	v_cmp_lt_u32_e32 vcc, 3, v30
	s_nop 0
	;; [unrolled: 5-line block ×3, first 2 shown]
	v_mov_b32_dpp v31, v29 row_shr:8 row_mask:0xf bank_mask:0xf
	v_cndmask_b32_e32 v30, 0, v31, vcc
	v_add_u32_e32 v29, v29, v30
	v_bfe_i32 v31, v11, 4, 1
	v_cmp_lt_u32_e32 vcc, 31, v11
	v_mov_b32_dpp v30, v29 row_bcast:15 row_mask:0xf bank_mask:0xf
	v_and_b32_e32 v30, v31, v30
	v_add_u32_e32 v29, v29, v30
	v_and_b32_e32 v31, 64, v11
	s_nop 0
	v_mov_b32_dpp v30, v29 row_bcast:31 row_mask:0xf bank_mask:0xf
	v_cndmask_b32_e32 v30, 0, v30, vcc
	v_add_u32_e32 v29, v29, v30
	v_add_u32_e32 v30, -1, v11
	v_cmp_lt_i32_e32 vcc, v30, v31
	v_cndmask_b32_e32 v11, v30, v11, vcc
	v_lshlrev_b32_e32 v11, 2, v11
	ds_bpermute_b32 v11, v11, v29
	s_waitcnt lgkmcnt(0)
	v_add_u32_e32 v11, v11, v12
	v_cndmask_b32_e64 v10, v11, v10, s[10:11]
	v_add_u32_e32 v11, v10, v13
	ds_write2_b32 v25, v10, v11 offset1:1
	v_add_u32_e32 v10, v11, v16
	v_add_u32_e32 v11, v10, v17
	ds_write2_b32 v25, v10, v11 offset0:2 offset1:3
	v_add_u32_e32 v10, v11, v18
	v_add_u32_e32 v11, v10, v19
	ds_write2_b32 v25, v10, v11 offset0:4 offset1:5
	;; [unrolled: 3-line block ×3, first 2 shown]
.LBB3_253:
	s_or_b64 exec, exec, s[24:25]
	v_mov_b32_e32 v10, 0
	v_mov_b32_e32 v11, 0
	s_waitcnt lgkmcnt(0)
	s_barrier
	s_and_saveexec_b64 s[24:25], s[22:23]
	s_cbranch_execz .LBB3_255
; %bb.254:
	ds_read_b32 v11, v26
.LBB3_255:
	s_or_b64 exec, exec, s[24:25]
	ds_read_b32 v12, v10 offset:2104
	s_waitcnt lgkmcnt(1)
	v_add_u32_e32 v11, v11, v9
	v_cmp_lt_i32_e32 vcc, v11, v7
	ds_write_b32 v24, v11 offset:6144
	s_waitcnt lgkmcnt(0)
	s_barrier
	s_and_saveexec_b64 s[24:25], vcc
	s_cbranch_execz .LBB3_261
; %bb.256:
	v_add_u32_e32 v9, v12, v9
	s_and_saveexec_b64 s[26:27], s[14:15]
	s_cbranch_execz .LBB3_258
; %bb.257:
	ds_read_b32 v9, v24 offset:6148
.LBB3_258:
	s_or_b64 exec, exec, s[26:27]
	s_waitcnt lgkmcnt(0)
	v_cmp_ge_i32_e32 vcc, v9, v7
	v_mov_b32_e32 v10, 0
	s_and_saveexec_b64 s[26:27], vcc
	s_cbranch_execz .LBB3_260
; %bb.259:
	s_mov_b32 s28, 0x8000
	v_add_u32_e32 v10, 0x600, v14
	v_sub_u32_e32 v9, v9, v11
	v_add_u32_e64 v11, s28, 0
	ds_write2_b32 v11, v9, v10 offset0:65 offset1:67
	v_mov_b32_e32 v10, 1
.LBB3_260:
	s_or_b64 exec, exec, s[26:27]
.LBB3_261:
	s_or_b64 exec, exec, s[24:25]
	v_or_b32_dpp v9, v10, v10 row_shl:1 row_mask:0xf bank_mask:0xf bound_ctrl:1
	s_and_b64 vcc, exec, s[8:9]
	s_nop 0
	v_or_b32_dpp v9, v9, v9 row_shl:2 row_mask:0xf bank_mask:0xf bound_ctrl:1
	s_nop 1
	v_or_b32_dpp v9, v9, v9 row_shl:4 row_mask:0xf bank_mask:0xf bound_ctrl:1
	;; [unrolled: 2-line block ×3, first 2 shown]
	s_nop 1
	v_mov_b32_dpp v10, v9 wave_shl:1 row_mask:0xf bank_mask:0xf bound_ctrl:1
	s_nop 1
	v_or_b32_dpp v9, v10, v9 row_mirror row_mask:0xf bank_mask:0xf bound_ctrl:1
	v_readlane_b32 s24, v9, 32
	v_readlane_b32 s8, v9, 0
	s_cbranch_vccnz .LBB3_268
; %bb.262:
	v_mbcnt_lo_u32_b32 v9, -1, 0
	s_bitcmp1_b32 exec_hi, 0
	v_mbcnt_hi_u32_b32 v9, -1, v9
	s_cselect_b32 s9, s24, 0
	v_or_b32_e32 v10, v9, v28
	s_or_b32 s24, s9, s8
	v_cmp_eq_u32_e32 vcc, 0, v10
	s_and_saveexec_b64 s[8:9], vcc
	s_cbranch_execz .LBB3_264
; %bb.263:
	v_mov_b32_e32 v10, 0
	v_mov_b32_e32 v11, s24
	ds_write_b32 v10, v11 offset:32768
.LBB3_264:
	s_or_b64 exec, exec, s[8:9]
	v_cmp_eq_u32_e32 vcc, 0, v9
	s_and_b64 s[26:27], s[16:17], vcc
	s_waitcnt lgkmcnt(0)
	s_barrier
	s_and_saveexec_b64 s[8:9], s[26:27]
	s_cbranch_execz .LBB3_267
; %bb.265:
	v_mbcnt_lo_u32_b32 v9, exec_lo, 0
	v_mbcnt_hi_u32_b32 v9, exec_hi, v9
	v_cmp_eq_u32_e32 vcc, 0, v9
	s_and_b64 exec, exec, vcc
	s_cbranch_execz .LBB3_267
; %bb.266:
	v_mov_b32_e32 v9, 0
	v_mov_b32_e32 v10, s24
	ds_or_b32 v9, v10 offset:32768
.LBB3_267:
	s_or_b64 exec, exec, s[8:9]
	v_mov_b32_e32 v9, 0
	s_waitcnt lgkmcnt(0)
	s_barrier
	ds_read_b32 v9, v9 offset:32768
	s_waitcnt lgkmcnt(0)
	s_barrier
.LBB3_268:
	v_mov_b32_e32 v9, 0
	s_waitcnt lgkmcnt(0)
	s_barrier
	ds_read_b32 v29, v9 offset:33036
	s_and_saveexec_b64 s[8:9], s[6:7]
	s_xor_b64 s[8:9], exec, s[8:9]
	s_cbranch_execz .LBB3_281
; %bb.269:
	v_add_u32_e32 v9, v14, v2
	v_cmp_lt_i32_e32 vcc, v9, v8
	s_and_saveexec_b64 s[24:25], vcc
	s_cbranch_execz .LBB3_280
; %bb.270:
	v_mov_b32_e32 v12, 0
	ds_read_b32 v11, v12 offset:33028
	v_mul_lo_u32 v10, v6, v9
	v_lshlrev_b32_e32 v13, 9, v6
	s_mov_b64 s[30:31], 0
	s_waitcnt lgkmcnt(0)
	v_readfirstlane_b32 s26, v11
	s_cmpk_lt_i32 s26, 0x801
	s_cselect_b64 s[26:27], -1, 0
	s_ashr_i32 s35, s34, 31
	s_getpc_b64 s[28:29]
	s_add_u32 s28, s28, llvm.amdgcn.dynlds.offset.table@rel32@lo+4
	s_addc_u32 s29, s29, llvm.amdgcn.dynlds.offset.table@rel32@hi+12
	s_lshl_b64 vcc, s[34:35], 2
	s_add_u32 s28, vcc_lo, s28
	s_addc_u32 s29, vcc_hi, s29
	s_branch .LBB3_273
.LBB3_271:                              ;   in Loop: Header=BB3_273 Depth=1
	s_or_b64 exec, exec, s[42:43]
	s_waitcnt lgkmcnt(0)
	v_readfirstlane_b32 vcc_lo, v17
	v_add_lshl_u32 v16, vcc_lo, v16, 2
	ds_write2st64_b32 v16, v9, v11 offset1:32
.LBB3_272:                              ;   in Loop: Header=BB3_273 Depth=1
	s_or_b64 exec, exec, s[40:41]
	v_add_u32_e32 v9, 0x200, v9
	v_cmp_ge_i32_e32 vcc, v9, v8
	s_or_b64 s[30:31], vcc, s[30:31]
	v_add_u32_e32 v10, v10, v13
	s_andn2_b64 exec, exec, s[30:31]
	s_cbranch_execz .LBB3_280
.LBB3_273:                              ; =>This Inner Loop Header: Depth=1
	v_ashrrev_i32_e32 v11, 31, v10
	v_lshlrev_b64 v[16:17], 2, v[10:11]
	v_add_co_u32_e32 v16, vcc, v0, v16
	v_addc_co_u32_e32 v17, vcc, v1, v17, vcc
	flat_load_dword v11, v[16:17]
	s_waitcnt vmcnt(0) lgkmcnt(0)
	v_not_b32_e32 v16, v11
	v_and_b32_e32 v16, 0x7fe00000, v16
	v_cmp_gt_i32_e32 vcc, 0, v11
	v_cndmask_b32_e32 v16, v16, v11, vcc
	v_lshrrev_b32_e32 v16, 21, v16
	v_cmp_lt_u32_e32 vcc, v16, v29
	s_and_saveexec_b64 s[40:41], vcc
	s_cbranch_execz .LBB3_277
; %bb.274:                              ;   in Loop: Header=BB3_273 Depth=1
	s_mov_b64 s[44:45], exec
	v_mbcnt_lo_u32_b32 v17, s44, 0
	v_mbcnt_hi_u32_b32 v17, s45, v17
	v_cmp_eq_u32_e32 vcc, 0, v17
                                        ; implicit-def: $vgpr18
	s_and_saveexec_b64 s[42:43], vcc
	s_cbranch_execz .LBB3_276
; %bb.275:                              ;   in Loop: Header=BB3_273 Depth=1
	s_bcnt1_i32_b64 vcc_lo, s[44:45]
	v_mov_b32_e32 v18, vcc_lo
	ds_add_rtn_u32 v18, v12, v18 offset:33032
.LBB3_276:                              ;   in Loop: Header=BB3_273 Depth=1
	s_or_b64 exec, exec, s[42:43]
	s_load_dword vcc_lo, s[28:29], 0x0
	s_waitcnt lgkmcnt(0)
	v_readfirstlane_b32 vcc_hi, v18
	v_add_u32_e32 v17, vcc_hi, v17
	v_lshl_add_u32 v17, v17, 2, vcc_lo
	ds_write_b32 v17, v9
.LBB3_277:                              ;   in Loop: Header=BB3_273 Depth=1
	s_or_b64 exec, exec, s[40:41]
	v_cmp_eq_u32_e32 vcc, v16, v29
	s_and_b64 vcc, vcc, s[26:27]
	s_and_saveexec_b64 s[40:41], vcc
	s_cbranch_execz .LBB3_272
; %bb.278:                              ;   in Loop: Header=BB3_273 Depth=1
	s_mov_b64 s[44:45], exec
	v_mbcnt_lo_u32_b32 v16, s44, 0
	v_mbcnt_hi_u32_b32 v16, s45, v16
	v_cmp_eq_u32_e32 vcc, 0, v16
                                        ; implicit-def: $vgpr17
	s_and_saveexec_b64 s[42:43], vcc
	s_cbranch_execz .LBB3_271
; %bb.279:                              ;   in Loop: Header=BB3_273 Depth=1
	s_bcnt1_i32_b64 vcc_lo, s[44:45]
	v_mov_b32_e32 v17, vcc_lo
	ds_add_rtn_u32 v17, v12, v17 offset:33024
	s_branch .LBB3_271
.LBB3_280:
	s_or_b64 exec, exec, s[24:25]
.LBB3_281:
	s_andn2_saveexec_b64 s[24:25], s[8:9]
	s_cbranch_execz .LBB3_336
; %bb.282:
	v_lshlrev_b64 v[10:11], 2, v[2:3]
	v_add_co_u32_e32 v9, vcc, v0, v10
	v_and_b32_e32 v18, 15, v9
	v_mov_b32_e32 v19, 0
	v_addc_co_u32_e32 v30, vcc, v1, v11, vcc
	v_sub_u32_e32 v12, 16, v18
	v_lshrrev_b32_e32 v12, 2, v12
	v_cmp_ne_u64_e32 vcc, 0, v[18:19]
	v_cndmask_b32_e32 v12, 0, v12, vcc
	v_min_i32_e32 v16, v12, v22
	v_sub_u32_e32 v12, v22, v16
	v_ashrrev_i32_e32 v13, 31, v12
	v_lshrrev_b32_e32 v13, 30, v13
	v_add_u32_e32 v12, v12, v13
	v_ashrrev_i32_e32 v18, 2, v12
	s_mov_b64 s[26:27], 0
	v_ashrrev_i32_e32 v17, 31, v16
	v_cmp_gt_i32_e32 vcc, v18, v14
	s_and_saveexec_b64 s[28:29], vcc
	s_cbranch_execz .LBB3_317
; %bb.283:
	ds_read_b32 v12, v19 offset:33028
	v_lshlrev_b32_e32 v20, 4, v14
	v_lshl_add_u32 v31, v14, 2, v16
	s_waitcnt lgkmcnt(0)
	v_readfirstlane_b32 s8, v12
	s_cmpk_lt_i32 s8, 0x801
	s_cselect_b64 s[30:31], -1, 0
	s_cmpk_gt_i32 s8, 0x800
	s_cselect_b64 s[8:9], -1, 0
	s_ashr_i32 s35, s34, 31
	s_getpc_b64 vcc
	s_add_u32 vcc_lo, vcc_lo, llvm.amdgcn.dynlds.offset.table@rel32@lo+4
	s_addc_u32 vcc_hi, vcc_hi, llvm.amdgcn.dynlds.offset.table@rel32@hi+12
	s_lshl_b64 s[40:41], s[34:35], 2
	s_add_u32 s40, s40, vcc_lo
	v_lshlrev_b64 v[12:13], 2, v[16:17]
	s_addc_u32 s41, s41, vcc_hi
	v_add_co_u32_e32 v12, vcc, v20, v12
	v_addc_co_u32_e32 v13, vcc, 0, v13, vcc
	v_add_co_u32_e32 v10, vcc, v12, v10
	v_addc_co_u32_e32 v11, vcc, v13, v11, vcc
	;; [unrolled: 2-line block ×3, first 2 shown]
	s_xor_b64 s[42:43], s[8:9], -1
	v_mov_b32_e32 v17, v14
	s_branch .LBB3_286
.LBB3_284:                              ;   in Loop: Header=BB3_286 Depth=1
	s_or_b64 exec, exec, s[44:45]
	s_waitcnt lgkmcnt(0)
	v_readfirstlane_b32 vcc_lo, v12
	v_add_lshl_u32 v11, vcc_lo, v11, 2
	ds_write2st64_b32 v11, v10, v13 offset1:32
.LBB3_285:                              ;   in Loop: Header=BB3_286 Depth=1
	s_or_b64 exec, exec, s[8:9]
	v_add_u32_e32 v17, 0x200, v17
	v_add_co_u32_e32 v20, vcc, 0x2000, v20
	v_cmp_ge_i32_e64 s[8:9], v17, v18
	v_add_u32_e32 v31, 0x800, v31
	s_or_b64 s[26:27], s[8:9], s[26:27]
	v_addc_co_u32_e32 v21, vcc, 0, v21, vcc
	s_andn2_b64 exec, exec, s[26:27]
	s_cbranch_execz .LBB3_317
.LBB3_286:                              ; =>This Inner Loop Header: Depth=1
	flat_load_dwordx4 v[10:13], v[20:21]
	s_waitcnt vmcnt(0) lgkmcnt(0)
	v_not_b32_e32 v32, v10
	v_and_b32_e32 v32, 0x7fe00000, v32
	v_cmp_gt_i32_e32 vcc, 0, v10
	v_cndmask_b32_e32 v32, v32, v10, vcc
	v_lshrrev_b32_e32 v32, 21, v32
	v_cmp_lt_u32_e32 vcc, v32, v29
	s_and_saveexec_b64 s[8:9], vcc
	s_cbranch_execz .LBB3_290
; %bb.287:                              ;   in Loop: Header=BB3_286 Depth=1
	s_mov_b64 s[46:47], exec
	v_mbcnt_lo_u32_b32 v33, s46, 0
	v_mbcnt_hi_u32_b32 v33, s47, v33
	v_cmp_eq_u32_e32 vcc, 0, v33
                                        ; implicit-def: $vgpr34
	s_and_saveexec_b64 s[44:45], vcc
	s_cbranch_execz .LBB3_289
; %bb.288:                              ;   in Loop: Header=BB3_286 Depth=1
	s_bcnt1_i32_b64 vcc_lo, s[46:47]
	v_mov_b32_e32 v34, vcc_lo
	ds_add_rtn_u32 v34, v19, v34 offset:33032
.LBB3_289:                              ;   in Loop: Header=BB3_286 Depth=1
	s_or_b64 exec, exec, s[44:45]
	s_load_dword vcc_lo, s[40:41], 0x0
	s_waitcnt lgkmcnt(0)
	v_readfirstlane_b32 vcc_hi, v34
	v_add_u32_e32 v33, vcc_hi, v33
	v_lshl_add_u32 v33, v33, 2, vcc_lo
	ds_write_b32 v33, v31
.LBB3_290:                              ;   in Loop: Header=BB3_286 Depth=1
	s_or_b64 exec, exec, s[8:9]
	v_cmp_eq_u32_e32 vcc, v32, v29
	s_and_b64 vcc, vcc, s[42:43]
	s_and_saveexec_b64 s[8:9], vcc
	s_cbranch_execz .LBB3_294
; %bb.291:                              ;   in Loop: Header=BB3_286 Depth=1
	s_mov_b64 s[46:47], exec
	v_mbcnt_lo_u32_b32 v32, s46, 0
	v_mbcnt_hi_u32_b32 v32, s47, v32
	v_cmp_eq_u32_e32 vcc, 0, v32
                                        ; implicit-def: $vgpr33
	s_and_saveexec_b64 s[44:45], vcc
	s_cbranch_execz .LBB3_293
; %bb.292:                              ;   in Loop: Header=BB3_286 Depth=1
	s_bcnt1_i32_b64 vcc_lo, s[46:47]
	v_mov_b32_e32 v33, vcc_lo
	ds_add_rtn_u32 v33, v19, v33 offset:33024
.LBB3_293:                              ;   in Loop: Header=BB3_286 Depth=1
	s_or_b64 exec, exec, s[44:45]
	s_waitcnt lgkmcnt(0)
	v_readfirstlane_b32 vcc_lo, v33
	v_add_lshl_u32 v32, vcc_lo, v32, 2
	ds_write2st64_b32 v32, v31, v10 offset1:32
.LBB3_294:                              ;   in Loop: Header=BB3_286 Depth=1
	s_or_b64 exec, exec, s[8:9]
	v_not_b32_e32 v32, v11
	v_and_b32_e32 v32, 0x7fe00000, v32
	v_cmp_gt_i32_e32 vcc, 0, v11
	v_cndmask_b32_e32 v32, v32, v11, vcc
	v_lshrrev_b32_e32 v32, 21, v32
	v_add_u32_e32 v10, 1, v31
	v_cmp_lt_u32_e32 vcc, v32, v29
	s_and_saveexec_b64 s[8:9], vcc
	s_cbranch_execz .LBB3_298
; %bb.295:                              ;   in Loop: Header=BB3_286 Depth=1
	s_mov_b64 s[46:47], exec
	v_mbcnt_lo_u32_b32 v33, s46, 0
	v_mbcnt_hi_u32_b32 v33, s47, v33
	v_cmp_eq_u32_e32 vcc, 0, v33
                                        ; implicit-def: $vgpr34
	s_and_saveexec_b64 s[44:45], vcc
	s_cbranch_execz .LBB3_297
; %bb.296:                              ;   in Loop: Header=BB3_286 Depth=1
	s_bcnt1_i32_b64 vcc_lo, s[46:47]
	v_mov_b32_e32 v34, vcc_lo
	ds_add_rtn_u32 v34, v19, v34 offset:33032
.LBB3_297:                              ;   in Loop: Header=BB3_286 Depth=1
	s_or_b64 exec, exec, s[44:45]
	s_load_dword vcc_lo, s[40:41], 0x0
	s_waitcnt lgkmcnt(0)
	v_readfirstlane_b32 vcc_hi, v34
	v_add_u32_e32 v33, vcc_hi, v33
	v_lshl_add_u32 v33, v33, 2, vcc_lo
	ds_write_b32 v33, v10
.LBB3_298:                              ;   in Loop: Header=BB3_286 Depth=1
	s_or_b64 exec, exec, s[8:9]
	v_cmp_eq_u32_e32 vcc, v32, v29
	s_and_b64 vcc, vcc, s[42:43]
	s_and_saveexec_b64 s[8:9], vcc
	s_cbranch_execz .LBB3_302
; %bb.299:                              ;   in Loop: Header=BB3_286 Depth=1
	s_mov_b64 s[46:47], exec
	v_mbcnt_lo_u32_b32 v32, s46, 0
	v_mbcnt_hi_u32_b32 v32, s47, v32
	v_cmp_eq_u32_e32 vcc, 0, v32
                                        ; implicit-def: $vgpr33
	s_and_saveexec_b64 s[44:45], vcc
	s_cbranch_execz .LBB3_301
; %bb.300:                              ;   in Loop: Header=BB3_286 Depth=1
	s_bcnt1_i32_b64 vcc_lo, s[46:47]
	v_mov_b32_e32 v33, vcc_lo
	ds_add_rtn_u32 v33, v19, v33 offset:33024
.LBB3_301:                              ;   in Loop: Header=BB3_286 Depth=1
	s_or_b64 exec, exec, s[44:45]
	s_waitcnt lgkmcnt(0)
	v_readfirstlane_b32 vcc_lo, v33
	v_add_lshl_u32 v32, vcc_lo, v32, 2
	ds_write2st64_b32 v32, v10, v11 offset1:32
.LBB3_302:                              ;   in Loop: Header=BB3_286 Depth=1
	s_or_b64 exec, exec, s[8:9]
	v_not_b32_e32 v11, v12
	v_and_b32_e32 v11, 0x7fe00000, v11
	v_cmp_gt_i32_e32 vcc, 0, v12
	v_cndmask_b32_e32 v11, v11, v12, vcc
	v_lshrrev_b32_e32 v11, 21, v11
	v_add_u32_e32 v10, 2, v31
	v_cmp_lt_u32_e32 vcc, v11, v29
	s_and_saveexec_b64 s[8:9], vcc
	s_cbranch_execz .LBB3_306
; %bb.303:                              ;   in Loop: Header=BB3_286 Depth=1
	s_mov_b64 s[46:47], exec
	v_mbcnt_lo_u32_b32 v32, s46, 0
	v_mbcnt_hi_u32_b32 v32, s47, v32
	v_cmp_eq_u32_e32 vcc, 0, v32
                                        ; implicit-def: $vgpr33
	s_and_saveexec_b64 s[44:45], vcc
	s_cbranch_execz .LBB3_305
; %bb.304:                              ;   in Loop: Header=BB3_286 Depth=1
	s_bcnt1_i32_b64 vcc_lo, s[46:47]
	v_mov_b32_e32 v33, vcc_lo
	ds_add_rtn_u32 v33, v19, v33 offset:33032
.LBB3_305:                              ;   in Loop: Header=BB3_286 Depth=1
	s_or_b64 exec, exec, s[44:45]
	s_load_dword vcc_lo, s[40:41], 0x0
	s_waitcnt lgkmcnt(0)
	v_readfirstlane_b32 vcc_hi, v33
	v_add_u32_e32 v32, vcc_hi, v32
	v_lshl_add_u32 v32, v32, 2, vcc_lo
	ds_write_b32 v32, v10
.LBB3_306:                              ;   in Loop: Header=BB3_286 Depth=1
	s_or_b64 exec, exec, s[8:9]
	v_cmp_eq_u32_e32 vcc, v11, v29
	s_and_b64 vcc, vcc, s[42:43]
	s_and_saveexec_b64 s[8:9], vcc
	s_cbranch_execz .LBB3_310
; %bb.307:                              ;   in Loop: Header=BB3_286 Depth=1
	s_mov_b64 s[46:47], exec
	v_mbcnt_lo_u32_b32 v11, s46, 0
	v_mbcnt_hi_u32_b32 v11, s47, v11
	v_cmp_eq_u32_e32 vcc, 0, v11
                                        ; implicit-def: $vgpr32
	s_and_saveexec_b64 s[44:45], vcc
	s_cbranch_execz .LBB3_309
; %bb.308:                              ;   in Loop: Header=BB3_286 Depth=1
	s_bcnt1_i32_b64 vcc_lo, s[46:47]
	v_mov_b32_e32 v32, vcc_lo
	ds_add_rtn_u32 v32, v19, v32 offset:33024
.LBB3_309:                              ;   in Loop: Header=BB3_286 Depth=1
	s_or_b64 exec, exec, s[44:45]
	s_waitcnt lgkmcnt(0)
	v_readfirstlane_b32 vcc_lo, v32
	v_add_lshl_u32 v11, vcc_lo, v11, 2
	ds_write2st64_b32 v11, v10, v12 offset1:32
.LBB3_310:                              ;   in Loop: Header=BB3_286 Depth=1
	s_or_b64 exec, exec, s[8:9]
	v_not_b32_e32 v11, v13
	v_and_b32_e32 v11, 0x7fe00000, v11
	v_cmp_gt_i32_e32 vcc, 0, v13
	v_cndmask_b32_e32 v11, v11, v13, vcc
	v_lshrrev_b32_e32 v11, 21, v11
	v_add_u32_e32 v10, 3, v31
	v_cmp_lt_u32_e32 vcc, v11, v29
	s_and_saveexec_b64 s[8:9], vcc
	s_cbranch_execz .LBB3_314
; %bb.311:                              ;   in Loop: Header=BB3_286 Depth=1
	s_mov_b64 s[46:47], exec
	v_mbcnt_lo_u32_b32 v12, s46, 0
	v_mbcnt_hi_u32_b32 v12, s47, v12
	v_cmp_eq_u32_e32 vcc, 0, v12
                                        ; implicit-def: $vgpr32
	s_and_saveexec_b64 s[44:45], vcc
	s_cbranch_execz .LBB3_313
; %bb.312:                              ;   in Loop: Header=BB3_286 Depth=1
	s_bcnt1_i32_b64 vcc_lo, s[46:47]
	v_mov_b32_e32 v32, vcc_lo
	ds_add_rtn_u32 v32, v19, v32 offset:33032
.LBB3_313:                              ;   in Loop: Header=BB3_286 Depth=1
	s_or_b64 exec, exec, s[44:45]
	s_load_dword vcc_lo, s[40:41], 0x0
	s_waitcnt lgkmcnt(0)
	v_readfirstlane_b32 vcc_hi, v32
	v_add_u32_e32 v12, vcc_hi, v12
	v_lshl_add_u32 v12, v12, 2, vcc_lo
	ds_write_b32 v12, v10
.LBB3_314:                              ;   in Loop: Header=BB3_286 Depth=1
	s_or_b64 exec, exec, s[8:9]
	v_cmp_eq_u32_e32 vcc, v11, v29
	s_and_b64 vcc, vcc, s[30:31]
	s_and_saveexec_b64 s[8:9], vcc
	s_cbranch_execz .LBB3_285
; %bb.315:                              ;   in Loop: Header=BB3_286 Depth=1
	s_mov_b64 s[46:47], exec
	v_mbcnt_lo_u32_b32 v11, s46, 0
	v_mbcnt_hi_u32_b32 v11, s47, v11
	v_cmp_eq_u32_e32 vcc, 0, v11
                                        ; implicit-def: $vgpr12
	s_and_saveexec_b64 s[44:45], vcc
	s_cbranch_execz .LBB3_284
; %bb.316:                              ;   in Loop: Header=BB3_286 Depth=1
	s_bcnt1_i32_b64 vcc_lo, s[46:47]
	v_mov_b32_e32 v12, vcc_lo
	ds_add_rtn_u32 v12, v19, v12 offset:33024
	s_branch .LBB3_284
.LBB3_317:
	s_or_b64 exec, exec, s[28:29]
	v_cmp_gt_u32_e32 vcc, v16, v14
	s_and_saveexec_b64 s[8:9], vcc
	s_cbranch_execz .LBB3_326
; %bb.318:
	v_add_co_u32_e32 v10, vcc, v9, v15
	v_addc_co_u32_e32 v11, vcc, 0, v30, vcc
	flat_load_dword v10, v[10:11]
	s_waitcnt vmcnt(0) lgkmcnt(0)
	v_not_b32_e32 v11, v10
	v_and_b32_e32 v11, 0x7fe00000, v11
	v_cmp_gt_i32_e32 vcc, 0, v10
	v_cndmask_b32_e32 v11, v11, v10, vcc
	v_lshrrev_b32_e32 v11, 21, v11
	v_cmp_lt_u32_e32 vcc, v11, v29
	s_and_saveexec_b64 s[26:27], vcc
	s_cbranch_execz .LBB3_322
; %bb.319:
	s_mov_b64 s[30:31], exec
	v_mbcnt_lo_u32_b32 v12, s30, 0
	v_mbcnt_hi_u32_b32 v12, s31, v12
	v_cmp_eq_u32_e32 vcc, 0, v12
                                        ; implicit-def: $vgpr13
	s_and_saveexec_b64 s[28:29], vcc
	s_cbranch_execz .LBB3_321
; %bb.320:
	s_bcnt1_i32_b64 vcc_lo, s[30:31]
	v_mov_b32_e32 v13, 0
	v_mov_b32_e32 v17, vcc_lo
	ds_add_rtn_u32 v13, v13, v17 offset:33032
.LBB3_321:
	s_or_b64 exec, exec, s[28:29]
	s_ashr_i32 s35, s34, 31
	s_lshl_b64 s[28:29], s[34:35], 2
	s_getpc_b64 vcc
	s_add_u32 vcc_lo, vcc_lo, llvm.amdgcn.dynlds.offset.table@rel32@lo+4
	s_addc_u32 vcc_hi, vcc_hi, llvm.amdgcn.dynlds.offset.table@rel32@hi+12
	s_add_u32 s28, s28, vcc_lo
	s_addc_u32 s29, s29, vcc_hi
	s_load_dword s28, s[28:29], 0x0
	s_waitcnt lgkmcnt(0)
	v_readfirstlane_b32 s29, v13
	v_add_u32_e32 v12, s29, v12
	v_lshl_add_u32 v12, v12, 2, s28
	ds_write_b32 v12, v14
.LBB3_322:
	s_or_b64 exec, exec, s[26:27]
	v_mov_b32_e32 v12, 0
	ds_read_b32 v12, v12 offset:33028
	v_cmp_eq_u32_e32 vcc, v11, v29
	s_waitcnt lgkmcnt(0)
	v_readfirstlane_b32 s26, v12
	s_cmpk_lt_i32 s26, 0x801
	s_cselect_b64 s[26:27], -1, 0
	s_and_b64 s[26:27], vcc, s[26:27]
	s_and_b64 exec, exec, s[26:27]
	s_cbranch_execz .LBB3_326
; %bb.323:
	s_mov_b64 s[28:29], exec
	v_mbcnt_lo_u32_b32 v11, s28, 0
	v_mbcnt_hi_u32_b32 v11, s29, v11
	v_cmp_eq_u32_e32 vcc, 0, v11
                                        ; implicit-def: $vgpr12
	s_and_saveexec_b64 s[26:27], vcc
	s_cbranch_execz .LBB3_325
; %bb.324:
	s_bcnt1_i32_b64 s28, s[28:29]
	v_mov_b32_e32 v12, 0
	v_mov_b32_e32 v13, s28
	ds_add_rtn_u32 v12, v12, v13 offset:33024
.LBB3_325:
	s_or_b64 exec, exec, s[26:27]
	s_waitcnt lgkmcnt(0)
	v_readfirstlane_b32 s26, v12
	v_add_lshl_u32 v11, s26, v11, 2
	ds_write2st64_b32 v11, v14, v10 offset1:32
.LBB3_326:
	s_or_b64 exec, exec, s[8:9]
	v_lshlrev_b32_e32 v10, 2, v18
	v_add3_u32 v10, v16, v14, v10
	v_cmp_lt_i32_e32 vcc, v10, v22
	s_and_saveexec_b64 s[8:9], vcc
	s_cbranch_execz .LBB3_335
; %bb.327:
	v_ashrrev_i32_e32 v11, 31, v10
	v_lshlrev_b64 v[12:13], 2, v[10:11]
	v_add_co_u32_e32 v12, vcc, v9, v12
	v_addc_co_u32_e32 v13, vcc, v30, v13, vcc
	flat_load_dword v9, v[12:13]
	s_waitcnt vmcnt(0) lgkmcnt(0)
	v_not_b32_e32 v11, v9
	v_and_b32_e32 v11, 0x7fe00000, v11
	v_cmp_gt_i32_e32 vcc, 0, v9
	v_cndmask_b32_e32 v11, v11, v9, vcc
	v_lshrrev_b32_e32 v11, 21, v11
	v_cmp_lt_u32_e32 vcc, v11, v29
	s_and_saveexec_b64 s[26:27], vcc
	s_cbranch_execz .LBB3_331
; %bb.328:
	s_mov_b64 s[30:31], exec
	v_mbcnt_lo_u32_b32 v12, s30, 0
	v_mbcnt_hi_u32_b32 v12, s31, v12
	v_cmp_eq_u32_e32 vcc, 0, v12
                                        ; implicit-def: $vgpr13
	s_and_saveexec_b64 s[28:29], vcc
	s_cbranch_execz .LBB3_330
; %bb.329:
	s_bcnt1_i32_b64 vcc_lo, s[30:31]
	v_mov_b32_e32 v13, 0
	v_mov_b32_e32 v16, vcc_lo
	ds_add_rtn_u32 v13, v13, v16 offset:33032
.LBB3_330:
	s_or_b64 exec, exec, s[28:29]
	s_ashr_i32 s35, s34, 31
	s_lshl_b64 s[28:29], s[34:35], 2
	s_getpc_b64 vcc
	s_add_u32 vcc_lo, vcc_lo, llvm.amdgcn.dynlds.offset.table@rel32@lo+4
	s_addc_u32 vcc_hi, vcc_hi, llvm.amdgcn.dynlds.offset.table@rel32@hi+12
	s_add_u32 s28, s28, vcc_lo
	s_addc_u32 s29, s29, vcc_hi
	s_load_dword s28, s[28:29], 0x0
	s_waitcnt lgkmcnt(0)
	v_readfirstlane_b32 s29, v13
	v_add_u32_e32 v12, s29, v12
	v_lshl_add_u32 v12, v12, 2, s28
	ds_write_b32 v12, v10
.LBB3_331:
	s_or_b64 exec, exec, s[26:27]
	v_mov_b32_e32 v12, 0
	ds_read_b32 v12, v12 offset:33028
	v_cmp_eq_u32_e32 vcc, v11, v29
	s_waitcnt lgkmcnt(0)
	v_readfirstlane_b32 s26, v12
	s_cmpk_lt_i32 s26, 0x801
	s_cselect_b64 s[26:27], -1, 0
	s_and_b64 s[26:27], vcc, s[26:27]
	s_and_b64 exec, exec, s[26:27]
	s_cbranch_execz .LBB3_335
; %bb.332:
	s_mov_b64 s[28:29], exec
	v_mbcnt_lo_u32_b32 v11, s28, 0
	v_mbcnt_hi_u32_b32 v11, s29, v11
	v_cmp_eq_u32_e32 vcc, 0, v11
                                        ; implicit-def: $vgpr12
	s_and_saveexec_b64 s[26:27], vcc
	s_cbranch_execz .LBB3_334
; %bb.333:
	s_bcnt1_i32_b64 s28, s[28:29]
	v_mov_b32_e32 v12, 0
	v_mov_b32_e32 v13, s28
	ds_add_rtn_u32 v12, v12, v13 offset:33024
.LBB3_334:
	s_or_b64 exec, exec, s[26:27]
	s_waitcnt lgkmcnt(0)
	v_readfirstlane_b32 s26, v12
	v_add_lshl_u32 v11, s26, v11, 2
	ds_write2st64_b32 v11, v10, v9 offset1:32
.LBB3_335:
	s_or_b64 exec, exec, s[8:9]
.LBB3_336:
	s_or_b64 exec, exec, s[24:25]
	v_mov_b32_e32 v9, 0
	s_waitcnt lgkmcnt(0)
	s_barrier
	ds_read_b32 v9, v9 offset:33028
	s_movk_i32 s8, 0x800
	s_waitcnt lgkmcnt(0)
	v_cmp_lt_i32_e64 s[8:9], s8, v9
.LBB3_337:
	s_andn2_b64 vcc, exec, s[8:9]
	s_cbranch_vccnz .LBB3_348
; %bb.338:
	v_mov_b32_e32 v9, 0
	ds_write_b32 v15, v9 offset:2112
	ds_write_b32 v24, v9 offset:2048
	s_and_saveexec_b64 s[8:9], s[20:21]
	s_cbranch_execz .LBB3_340
; %bb.339:
	ds_write_b32 v24, v9 offset:4096
.LBB3_340:
	s_or_b64 exec, exec, s[8:9]
	s_and_saveexec_b64 s[8:9], s[18:19]
	s_cbranch_execz .LBB3_342
; %bb.341:
	v_mov_b32_e32 v9, 0
	ds_write_b32 v24, v9 offset:6144
.LBB3_342:
	s_or_b64 exec, exec, s[8:9]
	v_lshlrev_b32_e32 v30, 21, v29
	s_waitcnt lgkmcnt(0)
	s_barrier
	s_and_saveexec_b64 s[8:9], s[6:7]
	s_xor_b64 s[8:9], exec, s[8:9]
	s_cbranch_execz .LBB3_350
; %bb.343:
	v_add_u32_e32 v9, v14, v2
	v_cmp_lt_i32_e32 vcc, v9, v8
	s_and_saveexec_b64 s[24:25], vcc
	s_cbranch_execz .LBB3_349
; %bb.344:
	v_mul_lo_u32 v10, v6, v9
	v_lshlrev_b32_e32 v12, 9, v6
	s_mov_b64 s[26:27], 0
	s_mov_b32 s30, 0x200000
	v_mov_b32_e32 v13, 1
	s_branch .LBB3_346
.LBB3_345:                              ;   in Loop: Header=BB3_346 Depth=1
	s_or_b64 exec, exec, s[28:29]
	v_add_u32_e32 v9, 0x200, v9
	v_cmp_ge_i32_e32 vcc, v9, v8
	s_or_b64 s[26:27], vcc, s[26:27]
	v_add_u32_e32 v10, v10, v12
	s_andn2_b64 exec, exec, s[26:27]
	s_cbranch_execz .LBB3_349
.LBB3_346:                              ; =>This Inner Loop Header: Depth=1
	v_ashrrev_i32_e32 v11, 31, v10
	v_lshlrev_b64 v[16:17], 2, v[10:11]
	v_add_co_u32_e32 v16, vcc, v0, v16
	v_addc_co_u32_e32 v17, vcc, v1, v17, vcc
	flat_load_dword v11, v[16:17]
	s_waitcnt vmcnt(0) lgkmcnt(0)
	v_not_b32_e32 v16, v11
	v_and_b32_e32 v17, 0x7fe00000, v16
	v_cmp_gt_i32_e32 vcc, 0, v11
	v_cndmask_b32_e32 v17, v17, v11, vcc
	v_xor_b32_e32 v17, v17, v30
	v_cmp_gt_u32_e32 vcc, s30, v17
	s_and_saveexec_b64 s[28:29], vcc
	s_cbranch_execz .LBB3_345
; %bb.347:                              ;   in Loop: Header=BB3_346 Depth=1
	v_lshrrev_b32_e32 v11, 10, v11
	v_ashrrev_i32_e32 v16, 31, v16
	v_xor_b32_e32 v11, v11, v16
	v_and_b32_e32 v11, 0x7ff, v11
	v_lshlrev_b32_e32 v11, 2, v11
	ds_add_u32 v11, v13 offset:2112
	s_branch .LBB3_345
.LBB3_348:
	v_mov_b32_e32 v30, 0
	s_mov_b64 s[8:9], -1
	s_cbranch_execnz .LBB3_516
	s_branch .LBB3_533
.LBB3_349:
	s_or_b64 exec, exec, s[24:25]
.LBB3_350:
	s_andn2_saveexec_b64 s[24:25], s[8:9]
	s_cbranch_execz .LBB3_369
; %bb.351:
	v_lshlrev_b64 v[10:11], 2, v[2:3]
	v_add_co_u32_e32 v9, vcc, v0, v10
	v_and_b32_e32 v12, 15, v9
	v_addc_co_u32_e32 v20, vcc, v1, v11, vcc
	v_mov_b32_e32 v13, 0
	v_sub_u32_e32 v16, 16, v12
	v_lshrrev_b32_e32 v16, 2, v16
	v_cmp_ne_u64_e32 vcc, 0, v[12:13]
	v_cndmask_b32_e32 v12, 0, v16, vcc
	v_min_i32_e32 v16, v12, v22
	v_sub_u32_e32 v12, v22, v16
	v_ashrrev_i32_e32 v13, 31, v12
	v_lshrrev_b32_e32 v13, 30, v13
	v_add_u32_e32 v12, v12, v13
	v_ashrrev_i32_e32 v21, 2, v12
	s_mov_b64 s[26:27], 0
	v_ashrrev_i32_e32 v17, 31, v16
	v_cmp_gt_i32_e32 vcc, v21, v14
	s_and_saveexec_b64 s[28:29], vcc
	s_cbranch_execz .LBB3_362
; %bb.352:
	v_lshlrev_b32_e32 v18, 4, v14
	v_lshlrev_b64 v[12:13], 2, v[16:17]
	v_add_co_u32_e32 v12, vcc, v18, v12
	v_addc_co_u32_e32 v13, vcc, 0, v13, vcc
	v_add_co_u32_e32 v10, vcc, v12, v10
	v_addc_co_u32_e32 v11, vcc, v13, v11, vcc
	;; [unrolled: 2-line block ×3, first 2 shown]
	s_mov_b32 s30, 0x200000
	v_mov_b32_e32 v17, 1
	v_mov_b32_e32 v29, v14
	s_branch .LBB3_354
.LBB3_353:                              ;   in Loop: Header=BB3_354 Depth=1
	s_or_b64 exec, exec, s[8:9]
	v_add_u32_e32 v29, 0x200, v29
	v_add_co_u32_e32 v18, vcc, 0x2000, v18
	v_cmp_ge_i32_e64 s[8:9], v29, v21
	s_or_b64 s[26:27], s[8:9], s[26:27]
	v_addc_co_u32_e32 v19, vcc, 0, v19, vcc
	s_andn2_b64 exec, exec, s[26:27]
	s_cbranch_execz .LBB3_362
.LBB3_354:                              ; =>This Inner Loop Header: Depth=1
	flat_load_dwordx4 v[10:13], v[18:19]
	s_waitcnt vmcnt(0) lgkmcnt(0)
	v_not_b32_e32 v31, v10
	v_and_b32_e32 v32, 0x7fe00000, v31
	v_cmp_gt_i32_e32 vcc, 0, v10
	v_cndmask_b32_e32 v32, v32, v10, vcc
	v_xor_b32_e32 v32, v32, v30
	v_cmp_gt_u32_e32 vcc, s30, v32
	s_and_saveexec_b64 s[8:9], vcc
	s_cbranch_execz .LBB3_356
; %bb.355:                              ;   in Loop: Header=BB3_354 Depth=1
	v_lshrrev_b32_e32 v10, 10, v10
	v_ashrrev_i32_e32 v31, 31, v31
	v_xor_b32_e32 v10, v10, v31
	v_and_b32_e32 v10, 0x7ff, v10
	v_lshlrev_b32_e32 v10, 2, v10
	ds_add_u32 v10, v17 offset:2112
.LBB3_356:                              ;   in Loop: Header=BB3_354 Depth=1
	s_or_b64 exec, exec, s[8:9]
	v_not_b32_e32 v10, v11
	v_and_b32_e32 v31, 0x7fe00000, v10
	v_cmp_gt_i32_e32 vcc, 0, v11
	v_cndmask_b32_e32 v31, v31, v11, vcc
	v_xor_b32_e32 v31, v31, v30
	v_cmp_gt_u32_e32 vcc, s30, v31
	s_and_saveexec_b64 s[8:9], vcc
	s_cbranch_execz .LBB3_358
; %bb.357:                              ;   in Loop: Header=BB3_354 Depth=1
	v_lshrrev_b32_e32 v11, 10, v11
	v_ashrrev_i32_e32 v10, 31, v10
	v_xor_b32_e32 v10, v11, v10
	v_and_b32_e32 v10, 0x7ff, v10
	v_lshlrev_b32_e32 v10, 2, v10
	ds_add_u32 v10, v17 offset:2112
.LBB3_358:                              ;   in Loop: Header=BB3_354 Depth=1
	s_or_b64 exec, exec, s[8:9]
	;; [unrolled: 17-line block ×3, first 2 shown]
	v_not_b32_e32 v10, v13
	v_and_b32_e32 v11, 0x7fe00000, v10
	v_cmp_gt_i32_e32 vcc, 0, v13
	v_cndmask_b32_e32 v11, v11, v13, vcc
	v_xor_b32_e32 v11, v11, v30
	v_cmp_gt_u32_e32 vcc, s30, v11
	s_and_saveexec_b64 s[8:9], vcc
	s_cbranch_execz .LBB3_353
; %bb.361:                              ;   in Loop: Header=BB3_354 Depth=1
	v_lshrrev_b32_e32 v11, 10, v13
	v_ashrrev_i32_e32 v10, 31, v10
	v_xor_b32_e32 v10, v11, v10
	v_and_b32_e32 v10, 0x7ff, v10
	v_lshlrev_b32_e32 v10, 2, v10
	ds_add_u32 v10, v17 offset:2112
	s_branch .LBB3_353
.LBB3_362:
	s_or_b64 exec, exec, s[28:29]
	v_cmp_gt_u32_e32 vcc, v16, v14
	s_and_saveexec_b64 s[8:9], vcc
	s_cbranch_execz .LBB3_365
; %bb.363:
	v_add_co_u32_e32 v10, vcc, v9, v15
	v_addc_co_u32_e32 v11, vcc, 0, v20, vcc
	flat_load_dword v10, v[10:11]
	s_mov_b32 s26, 0x200000
	s_waitcnt vmcnt(0) lgkmcnt(0)
	v_not_b32_e32 v11, v10
	v_and_b32_e32 v12, 0x7fe00000, v11
	v_cmp_gt_i32_e32 vcc, 0, v10
	v_cndmask_b32_e32 v12, v12, v10, vcc
	v_xor_b32_e32 v12, v12, v30
	v_cmp_gt_u32_e32 vcc, s26, v12
	s_and_b64 exec, exec, vcc
	s_cbranch_execz .LBB3_365
; %bb.364:
	v_lshrrev_b32_e32 v10, 10, v10
	v_ashrrev_i32_e32 v11, 31, v11
	v_xor_b32_e32 v10, v10, v11
	v_and_b32_e32 v10, 0x7ff, v10
	v_lshlrev_b32_e32 v10, 2, v10
	v_mov_b32_e32 v11, 1
	ds_add_u32 v10, v11 offset:2112
.LBB3_365:
	s_or_b64 exec, exec, s[8:9]
	v_lshlrev_b32_e32 v10, 2, v21
	v_add3_u32 v10, v16, v14, v10
	v_cmp_lt_i32_e32 vcc, v10, v22
	s_and_saveexec_b64 s[8:9], vcc
	s_cbranch_execz .LBB3_368
; %bb.366:
	v_ashrrev_i32_e32 v11, 31, v10
	v_lshlrev_b64 v[10:11], 2, v[10:11]
	v_add_co_u32_e32 v10, vcc, v9, v10
	v_addc_co_u32_e32 v11, vcc, v20, v11, vcc
	flat_load_dword v9, v[10:11]
	s_mov_b32 s26, 0x200000
	s_waitcnt vmcnt(0) lgkmcnt(0)
	v_not_b32_e32 v10, v9
	v_and_b32_e32 v11, 0x7fe00000, v10
	v_cmp_gt_i32_e32 vcc, 0, v9
	v_cndmask_b32_e32 v11, v11, v9, vcc
	v_xor_b32_e32 v11, v11, v30
	v_cmp_gt_u32_e32 vcc, s26, v11
	s_and_b64 exec, exec, vcc
	s_cbranch_execz .LBB3_368
; %bb.367:
	v_lshrrev_b32_e32 v9, 10, v9
	v_ashrrev_i32_e32 v10, 31, v10
	v_xor_b32_e32 v9, v9, v10
	v_and_b32_e32 v9, 0x7ff, v9
	v_lshlrev_b32_e32 v9, 2, v9
	v_mov_b32_e32 v10, 1
	ds_add_u32 v9, v10 offset:2112
.LBB3_368:
	s_or_b64 exec, exec, s[8:9]
.LBB3_369:
	s_or_b64 exec, exec, s[24:25]
	s_waitcnt lgkmcnt(0)
	s_barrier
	v_mov_b32_e32 v10, 0
	ds_read_b32 v11, v15 offset:2112
	ds_read_b32 v9, v10 offset:33032
	s_waitcnt lgkmcnt(0)
	s_barrier
	ds_write_b32 v27, v11
	s_waitcnt lgkmcnt(0)
	s_barrier
	s_and_saveexec_b64 s[8:9], s[12:13]
	s_cbranch_execz .LBB3_371
; %bb.370:
	ds_read2_b32 v[12:13], v25 offset1:1
	ds_read2_b32 v[16:17], v25 offset0:2 offset1:3
	ds_read2_b32 v[18:19], v25 offset0:4 offset1:5
	;; [unrolled: 1-line block ×3, first 2 shown]
	v_mbcnt_lo_u32_b32 v29, -1, 0
	s_waitcnt lgkmcnt(3)
	v_add_u32_e32 v31, v13, v12
	s_waitcnt lgkmcnt(2)
	v_add3_u32 v31, v31, v16, v17
	s_waitcnt lgkmcnt(1)
	v_add3_u32 v31, v31, v18, v19
	v_mbcnt_hi_u32_b32 v29, -1, v29
	s_waitcnt lgkmcnt(0)
	v_add3_u32 v31, v31, v20, v21
	v_and_b32_e32 v32, 15, v29
	v_cmp_ne_u32_e32 vcc, 0, v32
	v_mov_b32_dpp v33, v31 row_shr:1 row_mask:0xf bank_mask:0xf
	v_cndmask_b32_e32 v33, 0, v33, vcc
	v_add_u32_e32 v31, v33, v31
	v_cmp_lt_u32_e32 vcc, 1, v32
	s_nop 0
	v_mov_b32_dpp v33, v31 row_shr:2 row_mask:0xf bank_mask:0xf
	v_cndmask_b32_e32 v33, 0, v33, vcc
	v_add_u32_e32 v31, v31, v33
	v_cmp_lt_u32_e32 vcc, 3, v32
	s_nop 0
	;; [unrolled: 5-line block ×3, first 2 shown]
	v_mov_b32_dpp v33, v31 row_shr:8 row_mask:0xf bank_mask:0xf
	v_cndmask_b32_e32 v32, 0, v33, vcc
	v_add_u32_e32 v31, v31, v32
	v_bfe_i32 v33, v29, 4, 1
	v_cmp_lt_u32_e32 vcc, 31, v29
	v_mov_b32_dpp v32, v31 row_bcast:15 row_mask:0xf bank_mask:0xf
	v_and_b32_e32 v32, v33, v32
	v_add_u32_e32 v31, v31, v32
	v_and_b32_e32 v33, 64, v29
	s_nop 0
	v_mov_b32_dpp v32, v31 row_bcast:31 row_mask:0xf bank_mask:0xf
	v_cndmask_b32_e32 v32, 0, v32, vcc
	v_add_u32_e32 v31, v31, v32
	v_add_u32_e32 v32, -1, v29
	v_cmp_lt_i32_e32 vcc, v32, v33
	v_cndmask_b32_e32 v29, v32, v29, vcc
	v_lshlrev_b32_e32 v29, 2, v29
	ds_bpermute_b32 v29, v29, v31
	s_waitcnt lgkmcnt(0)
	v_add_u32_e32 v12, v29, v12
	v_cndmask_b32_e64 v11, v12, v11, s[10:11]
	v_add_u32_e32 v12, v11, v13
	ds_write2_b32 v25, v11, v12 offset1:1
	v_add_u32_e32 v11, v12, v16
	v_add_u32_e32 v12, v11, v17
	ds_write2_b32 v25, v11, v12 offset0:2 offset1:3
	v_add_u32_e32 v11, v12, v18
	v_add_u32_e32 v12, v11, v19
	ds_write2_b32 v25, v11, v12 offset0:4 offset1:5
	;; [unrolled: 3-line block ×3, first 2 shown]
.LBB3_371:
	s_or_b64 exec, exec, s[8:9]
	s_waitcnt lgkmcnt(0)
	s_barrier
	s_and_saveexec_b64 s[8:9], s[22:23]
	s_cbranch_execz .LBB3_373
; %bb.372:
	ds_read_b32 v10, v26
.LBB3_373:
	s_or_b64 exec, exec, s[8:9]
	v_mov_b32_e32 v11, 0
	ds_read_b32 v12, v11 offset:2104
	s_waitcnt lgkmcnt(1)
	v_add_u32_e32 v10, v10, v9
	v_cmp_lt_i32_e32 vcc, v10, v7
	ds_write_b32 v15, v10 offset:2112
	s_waitcnt lgkmcnt(0)
	v_add_u32_e32 v9, v12, v9
	s_barrier
	s_and_saveexec_b64 s[8:9], vcc
	s_cbranch_execz .LBB3_379
; %bb.374:
	v_mov_b32_e32 v12, v9
	s_and_saveexec_b64 s[24:25], s[14:15]
	s_cbranch_execz .LBB3_376
; %bb.375:
	ds_read_b32 v12, v24 offset:4
.LBB3_376:
	s_or_b64 exec, exec, s[24:25]
	s_waitcnt lgkmcnt(0)
	v_cmp_ge_i32_e32 vcc, v12, v7
	v_mov_b32_e32 v11, 0
	s_and_saveexec_b64 s[24:25], vcc
	s_cbranch_execz .LBB3_378
; %bb.377:
	s_mov_b32 s26, 0x8000
	v_sub_u32_e32 v10, v12, v10
	v_add_u32_e64 v11, s26, 0
	ds_write2_b32 v11, v10, v14 offset0:65 offset1:67
	v_mov_b32_e32 v11, 1
.LBB3_378:
	s_or_b64 exec, exec, s[24:25]
.LBB3_379:
	s_or_b64 exec, exec, s[8:9]
	v_or_b32_dpp v10, v11, v11 row_shl:1 row_mask:0xf bank_mask:0xf bound_ctrl:1
	s_bitcmp1_b32 exec_hi, 0
	s_nop 0
	v_or_b32_dpp v10, v10, v10 row_shl:2 row_mask:0xf bank_mask:0xf bound_ctrl:1
	s_nop 1
	v_or_b32_dpp v10, v10, v10 row_shl:4 row_mask:0xf bank_mask:0xf bound_ctrl:1
	;; [unrolled: 2-line block ×3, first 2 shown]
	s_nop 1
	v_mov_b32_dpp v11, v10 wave_shl:1 row_mask:0xf bank_mask:0xf bound_ctrl:1
	s_nop 1
	v_or_b32_dpp v10, v11, v10 row_mirror row_mask:0xf bank_mask:0xf bound_ctrl:1
	v_readlane_b32 s8, v10, 32
	s_cselect_b32 s8, s8, 0
	v_readlane_b32 s9, v10, 0
	s_or_b32 s26, s8, s9
	v_cndmask_b32_e64 v10, 0, 1, s[38:39]
	v_cmp_ne_u32_e64 s[8:9], 1, v10
	s_andn2_b64 vcc, exec, s[38:39]
	v_mov_b32_e32 v10, s26
	s_cbranch_vccnz .LBB3_386
; %bb.380:
	v_mbcnt_lo_u32_b32 v10, -1, 0
	v_mbcnt_hi_u32_b32 v10, -1, v10
	v_or_b32_e32 v11, v10, v28
	v_cmp_eq_u32_e32 vcc, 0, v11
	s_and_saveexec_b64 s[24:25], vcc
	s_cbranch_execz .LBB3_382
; %bb.381:
	v_mov_b32_e32 v11, 0
	v_mov_b32_e32 v12, s26
	ds_write_b32 v11, v12 offset:32768
.LBB3_382:
	s_or_b64 exec, exec, s[24:25]
	v_cmp_eq_u32_e32 vcc, 0, v10
	s_and_b64 s[28:29], s[16:17], vcc
	s_waitcnt lgkmcnt(0)
	s_barrier
	s_and_saveexec_b64 s[24:25], s[28:29]
	s_cbranch_execz .LBB3_385
; %bb.383:
	v_mbcnt_lo_u32_b32 v10, exec_lo, 0
	v_mbcnt_hi_u32_b32 v10, exec_hi, v10
	v_cmp_eq_u32_e32 vcc, 0, v10
	s_and_b64 exec, exec, vcc
	s_cbranch_execz .LBB3_385
; %bb.384:
	v_mov_b32_e32 v10, 0
	v_mov_b32_e32 v11, s26
	ds_or_b32 v10, v11 offset:32768
.LBB3_385:
	s_or_b64 exec, exec, s[24:25]
	v_mov_b32_e32 v10, 0
	s_waitcnt lgkmcnt(0)
	s_barrier
	ds_read_b32 v10, v10 offset:32768
	s_waitcnt lgkmcnt(0)
	s_barrier
.LBB3_386:
	v_cmp_eq_u32_e32 vcc, 0, v10
	s_cbranch_vccz .LBB3_440
; %bb.387:
	ds_read_b32 v10, v24 offset:2048
	s_waitcnt lgkmcnt(0)
	s_barrier
	ds_write_b32 v27, v10
	s_waitcnt lgkmcnt(0)
	s_barrier
	s_and_saveexec_b64 s[24:25], s[12:13]
	s_cbranch_execz .LBB3_389
; %bb.388:
	ds_read2_b32 v[12:13], v25 offset1:1
	ds_read2_b32 v[16:17], v25 offset0:2 offset1:3
	ds_read2_b32 v[18:19], v25 offset0:4 offset1:5
	;; [unrolled: 1-line block ×3, first 2 shown]
	v_mbcnt_lo_u32_b32 v11, -1, 0
	s_waitcnt lgkmcnt(3)
	v_add_u32_e32 v29, v13, v12
	s_waitcnt lgkmcnt(2)
	v_add3_u32 v29, v29, v16, v17
	s_waitcnt lgkmcnt(1)
	v_add3_u32 v29, v29, v18, v19
	v_mbcnt_hi_u32_b32 v11, -1, v11
	s_waitcnt lgkmcnt(0)
	v_add3_u32 v29, v29, v20, v21
	v_and_b32_e32 v31, 15, v11
	v_cmp_ne_u32_e32 vcc, 0, v31
	v_mov_b32_dpp v32, v29 row_shr:1 row_mask:0xf bank_mask:0xf
	v_cndmask_b32_e32 v32, 0, v32, vcc
	v_add_u32_e32 v29, v32, v29
	v_cmp_lt_u32_e32 vcc, 1, v31
	s_nop 0
	v_mov_b32_dpp v32, v29 row_shr:2 row_mask:0xf bank_mask:0xf
	v_cndmask_b32_e32 v32, 0, v32, vcc
	v_add_u32_e32 v29, v29, v32
	v_cmp_lt_u32_e32 vcc, 3, v31
	s_nop 0
	v_mov_b32_dpp v32, v29 row_shr:4 row_mask:0xf bank_mask:0xf
	v_cndmask_b32_e32 v32, 0, v32, vcc
	v_add_u32_e32 v29, v29, v32
	v_cmp_lt_u32_e32 vcc, 7, v31
	s_nop 0
	v_mov_b32_dpp v32, v29 row_shr:8 row_mask:0xf bank_mask:0xf
	v_cndmask_b32_e32 v31, 0, v32, vcc
	v_add_u32_e32 v29, v29, v31
	v_bfe_i32 v32, v11, 4, 1
	v_cmp_lt_u32_e32 vcc, 31, v11
	v_mov_b32_dpp v31, v29 row_bcast:15 row_mask:0xf bank_mask:0xf
	v_and_b32_e32 v31, v32, v31
	v_add_u32_e32 v29, v29, v31
	v_and_b32_e32 v32, 64, v11
	s_nop 0
	v_mov_b32_dpp v31, v29 row_bcast:31 row_mask:0xf bank_mask:0xf
	v_cndmask_b32_e32 v31, 0, v31, vcc
	v_add_u32_e32 v29, v29, v31
	v_add_u32_e32 v31, -1, v11
	v_cmp_lt_i32_e32 vcc, v31, v32
	v_cndmask_b32_e32 v11, v31, v11, vcc
	v_lshlrev_b32_e32 v11, 2, v11
	ds_bpermute_b32 v11, v11, v29
	s_waitcnt lgkmcnt(0)
	v_add_u32_e32 v11, v11, v12
	v_cndmask_b32_e64 v10, v11, v10, s[10:11]
	v_add_u32_e32 v11, v10, v13
	ds_write2_b32 v25, v10, v11 offset1:1
	v_add_u32_e32 v10, v11, v16
	v_add_u32_e32 v11, v10, v17
	ds_write2_b32 v25, v10, v11 offset0:2 offset1:3
	v_add_u32_e32 v10, v11, v18
	v_add_u32_e32 v11, v10, v19
	ds_write2_b32 v25, v10, v11 offset0:4 offset1:5
	;; [unrolled: 3-line block ×3, first 2 shown]
.LBB3_389:
	s_or_b64 exec, exec, s[24:25]
	v_mov_b32_e32 v10, 0
	v_mov_b32_e32 v11, 0
	s_waitcnt lgkmcnt(0)
	s_barrier
	s_and_saveexec_b64 s[24:25], s[22:23]
	s_cbranch_execz .LBB3_391
; %bb.390:
	ds_read_b32 v11, v26
.LBB3_391:
	s_or_b64 exec, exec, s[24:25]
	ds_read_b32 v12, v10 offset:2104
	s_waitcnt lgkmcnt(1)
	v_add_u32_e32 v11, v11, v9
	v_cmp_lt_i32_e32 vcc, v11, v7
	ds_write_b32 v24, v11 offset:2048
	s_waitcnt lgkmcnt(0)
	v_add_u32_e32 v9, v12, v9
	s_barrier
	s_and_saveexec_b64 s[24:25], vcc
	s_cbranch_execz .LBB3_397
; %bb.392:
	v_mov_b32_e32 v12, v9
	s_and_saveexec_b64 s[26:27], s[14:15]
	s_cbranch_execz .LBB3_394
; %bb.393:
	ds_read_b32 v12, v24 offset:2052
.LBB3_394:
	s_or_b64 exec, exec, s[26:27]
	s_waitcnt lgkmcnt(0)
	v_cmp_ge_i32_e32 vcc, v12, v7
	v_mov_b32_e32 v10, 0
	s_and_saveexec_b64 s[26:27], vcc
	s_cbranch_execz .LBB3_396
; %bb.395:
	s_mov_b32 s28, 0x8000
	v_add_u32_e32 v10, 0x200, v14
	v_sub_u32_e32 v11, v12, v11
	v_add_u32_e64 v12, s28, 0
	ds_write2_b32 v12, v11, v10 offset0:65 offset1:67
	v_mov_b32_e32 v10, 1
.LBB3_396:
	s_or_b64 exec, exec, s[26:27]
.LBB3_397:
	s_or_b64 exec, exec, s[24:25]
	v_or_b32_dpp v10, v10, v10 row_shl:1 row_mask:0xf bank_mask:0xf bound_ctrl:1
	s_bitcmp1_b32 exec_hi, 0
	s_nop 0
	v_or_b32_dpp v10, v10, v10 row_shl:2 row_mask:0xf bank_mask:0xf bound_ctrl:1
	s_nop 1
	v_or_b32_dpp v10, v10, v10 row_shl:4 row_mask:0xf bank_mask:0xf bound_ctrl:1
	;; [unrolled: 2-line block ×3, first 2 shown]
	s_nop 1
	v_mov_b32_dpp v11, v10 wave_shl:1 row_mask:0xf bank_mask:0xf bound_ctrl:1
	s_nop 1
	v_or_b32_dpp v10, v11, v10 row_mirror row_mask:0xf bank_mask:0xf bound_ctrl:1
	v_readlane_b32 s24, v10, 32
	s_cselect_b32 s24, s24, 0
	v_readlane_b32 s25, v10, 0
	s_or_b32 s26, s24, s25
	s_and_b64 vcc, exec, s[8:9]
	v_mov_b32_e32 v10, s26
	s_cbranch_vccnz .LBB3_404
; %bb.398:
	v_mbcnt_lo_u32_b32 v10, -1, 0
	v_mbcnt_hi_u32_b32 v10, -1, v10
	v_or_b32_e32 v11, v10, v28
	v_cmp_eq_u32_e32 vcc, 0, v11
	s_and_saveexec_b64 s[24:25], vcc
	s_cbranch_execz .LBB3_400
; %bb.399:
	v_mov_b32_e32 v11, 0
	v_mov_b32_e32 v12, s26
	ds_write_b32 v11, v12 offset:32768
.LBB3_400:
	s_or_b64 exec, exec, s[24:25]
	v_cmp_eq_u32_e32 vcc, 0, v10
	s_and_b64 s[28:29], s[16:17], vcc
	s_waitcnt lgkmcnt(0)
	s_barrier
	s_and_saveexec_b64 s[24:25], s[28:29]
	s_cbranch_execz .LBB3_403
; %bb.401:
	v_mbcnt_lo_u32_b32 v10, exec_lo, 0
	v_mbcnt_hi_u32_b32 v10, exec_hi, v10
	v_cmp_eq_u32_e32 vcc, 0, v10
	s_and_b64 exec, exec, vcc
	s_cbranch_execz .LBB3_403
; %bb.402:
	v_mov_b32_e32 v10, 0
	v_mov_b32_e32 v11, s26
	ds_or_b32 v10, v11 offset:32768
.LBB3_403:
	s_or_b64 exec, exec, s[24:25]
	v_mov_b32_e32 v10, 0
	s_waitcnt lgkmcnt(0)
	s_barrier
	ds_read_b32 v10, v10 offset:32768
	s_waitcnt lgkmcnt(0)
	s_barrier
.LBB3_404:
	v_cmp_ne_u32_e32 vcc, 0, v10
	s_cbranch_vccnz .LBB3_440
; %bb.405:
	ds_read_b32 v10, v24 offset:4096
	s_waitcnt lgkmcnt(0)
	s_barrier
	ds_write_b32 v27, v10
	s_waitcnt lgkmcnt(0)
	s_barrier
	s_and_saveexec_b64 s[24:25], s[12:13]
	s_cbranch_execz .LBB3_407
; %bb.406:
	ds_read2_b32 v[12:13], v25 offset1:1
	ds_read2_b32 v[16:17], v25 offset0:2 offset1:3
	ds_read2_b32 v[18:19], v25 offset0:4 offset1:5
	ds_read2_b32 v[20:21], v25 offset0:6 offset1:7
	v_mbcnt_lo_u32_b32 v11, -1, 0
	s_waitcnt lgkmcnt(3)
	v_add_u32_e32 v29, v13, v12
	s_waitcnt lgkmcnt(2)
	v_add3_u32 v29, v29, v16, v17
	s_waitcnt lgkmcnt(1)
	v_add3_u32 v29, v29, v18, v19
	v_mbcnt_hi_u32_b32 v11, -1, v11
	s_waitcnt lgkmcnt(0)
	v_add3_u32 v29, v29, v20, v21
	v_and_b32_e32 v31, 15, v11
	v_cmp_ne_u32_e32 vcc, 0, v31
	v_mov_b32_dpp v32, v29 row_shr:1 row_mask:0xf bank_mask:0xf
	v_cndmask_b32_e32 v32, 0, v32, vcc
	v_add_u32_e32 v29, v32, v29
	v_cmp_lt_u32_e32 vcc, 1, v31
	s_nop 0
	v_mov_b32_dpp v32, v29 row_shr:2 row_mask:0xf bank_mask:0xf
	v_cndmask_b32_e32 v32, 0, v32, vcc
	v_add_u32_e32 v29, v29, v32
	v_cmp_lt_u32_e32 vcc, 3, v31
	s_nop 0
	v_mov_b32_dpp v32, v29 row_shr:4 row_mask:0xf bank_mask:0xf
	v_cndmask_b32_e32 v32, 0, v32, vcc
	v_add_u32_e32 v29, v29, v32
	v_cmp_lt_u32_e32 vcc, 7, v31
	s_nop 0
	v_mov_b32_dpp v32, v29 row_shr:8 row_mask:0xf bank_mask:0xf
	v_cndmask_b32_e32 v31, 0, v32, vcc
	v_add_u32_e32 v29, v29, v31
	v_bfe_i32 v32, v11, 4, 1
	v_cmp_lt_u32_e32 vcc, 31, v11
	v_mov_b32_dpp v31, v29 row_bcast:15 row_mask:0xf bank_mask:0xf
	v_and_b32_e32 v31, v32, v31
	v_add_u32_e32 v29, v29, v31
	v_and_b32_e32 v32, 64, v11
	s_nop 0
	v_mov_b32_dpp v31, v29 row_bcast:31 row_mask:0xf bank_mask:0xf
	v_cndmask_b32_e32 v31, 0, v31, vcc
	v_add_u32_e32 v29, v29, v31
	v_add_u32_e32 v31, -1, v11
	v_cmp_lt_i32_e32 vcc, v31, v32
	v_cndmask_b32_e32 v11, v31, v11, vcc
	v_lshlrev_b32_e32 v11, 2, v11
	ds_bpermute_b32 v11, v11, v29
	s_waitcnt lgkmcnt(0)
	v_add_u32_e32 v11, v11, v12
	v_cndmask_b32_e64 v10, v11, v10, s[10:11]
	v_add_u32_e32 v11, v10, v13
	ds_write2_b32 v25, v10, v11 offset1:1
	v_add_u32_e32 v10, v11, v16
	v_add_u32_e32 v11, v10, v17
	ds_write2_b32 v25, v10, v11 offset0:2 offset1:3
	v_add_u32_e32 v10, v11, v18
	v_add_u32_e32 v11, v10, v19
	ds_write2_b32 v25, v10, v11 offset0:4 offset1:5
	;; [unrolled: 3-line block ×3, first 2 shown]
.LBB3_407:
	s_or_b64 exec, exec, s[24:25]
	v_mov_b32_e32 v10, 0
	v_mov_b32_e32 v11, 0
	s_waitcnt lgkmcnt(0)
	s_barrier
	s_and_saveexec_b64 s[24:25], s[22:23]
	s_cbranch_execz .LBB3_409
; %bb.408:
	ds_read_b32 v11, v26
.LBB3_409:
	s_or_b64 exec, exec, s[24:25]
	ds_read_b32 v12, v10 offset:2104
	s_waitcnt lgkmcnt(1)
	v_add_u32_e32 v11, v11, v9
	v_cmp_lt_i32_e32 vcc, v11, v7
	ds_write_b32 v24, v11 offset:4096
	s_waitcnt lgkmcnt(0)
	v_add_u32_e32 v9, v12, v9
	s_barrier
	s_and_saveexec_b64 s[24:25], vcc
	s_cbranch_execz .LBB3_415
; %bb.410:
	v_mov_b32_e32 v12, v9
	s_and_saveexec_b64 s[26:27], s[14:15]
	s_cbranch_execz .LBB3_412
; %bb.411:
	ds_read_b32 v12, v24 offset:4100
.LBB3_412:
	s_or_b64 exec, exec, s[26:27]
	s_waitcnt lgkmcnt(0)
	v_cmp_ge_i32_e32 vcc, v12, v7
	v_mov_b32_e32 v10, 0
	s_and_saveexec_b64 s[26:27], vcc
	s_cbranch_execz .LBB3_414
; %bb.413:
	s_mov_b32 s28, 0x8000
	v_or_b32_e32 v10, 0x400, v14
	v_sub_u32_e32 v11, v12, v11
	v_add_u32_e64 v12, s28, 0
	ds_write2_b32 v12, v11, v10 offset0:65 offset1:67
	v_mov_b32_e32 v10, 1
.LBB3_414:
	s_or_b64 exec, exec, s[26:27]
.LBB3_415:
	s_or_b64 exec, exec, s[24:25]
	v_or_b32_dpp v10, v10, v10 row_shl:1 row_mask:0xf bank_mask:0xf bound_ctrl:1
	s_bitcmp1_b32 exec_hi, 0
	s_nop 0
	v_or_b32_dpp v10, v10, v10 row_shl:2 row_mask:0xf bank_mask:0xf bound_ctrl:1
	s_nop 1
	v_or_b32_dpp v10, v10, v10 row_shl:4 row_mask:0xf bank_mask:0xf bound_ctrl:1
	;; [unrolled: 2-line block ×3, first 2 shown]
	s_nop 1
	v_mov_b32_dpp v11, v10 wave_shl:1 row_mask:0xf bank_mask:0xf bound_ctrl:1
	s_nop 1
	v_or_b32_dpp v10, v11, v10 row_mirror row_mask:0xf bank_mask:0xf bound_ctrl:1
	v_readlane_b32 s24, v10, 32
	s_cselect_b32 s24, s24, 0
	v_readlane_b32 s25, v10, 0
	s_or_b32 s26, s24, s25
	s_and_b64 vcc, exec, s[8:9]
	v_mov_b32_e32 v10, s26
	s_cbranch_vccnz .LBB3_422
; %bb.416:
	v_mbcnt_lo_u32_b32 v10, -1, 0
	v_mbcnt_hi_u32_b32 v10, -1, v10
	v_or_b32_e32 v11, v10, v28
	v_cmp_eq_u32_e32 vcc, 0, v11
	s_and_saveexec_b64 s[24:25], vcc
	s_cbranch_execz .LBB3_418
; %bb.417:
	v_mov_b32_e32 v11, 0
	v_mov_b32_e32 v12, s26
	ds_write_b32 v11, v12 offset:32768
.LBB3_418:
	s_or_b64 exec, exec, s[24:25]
	v_cmp_eq_u32_e32 vcc, 0, v10
	s_and_b64 s[28:29], s[16:17], vcc
	s_waitcnt lgkmcnt(0)
	s_barrier
	s_and_saveexec_b64 s[24:25], s[28:29]
	s_cbranch_execz .LBB3_421
; %bb.419:
	v_mbcnt_lo_u32_b32 v10, exec_lo, 0
	v_mbcnt_hi_u32_b32 v10, exec_hi, v10
	v_cmp_eq_u32_e32 vcc, 0, v10
	s_and_b64 exec, exec, vcc
	s_cbranch_execz .LBB3_421
; %bb.420:
	v_mov_b32_e32 v10, 0
	v_mov_b32_e32 v11, s26
	ds_or_b32 v10, v11 offset:32768
.LBB3_421:
	s_or_b64 exec, exec, s[24:25]
	v_mov_b32_e32 v10, 0
	s_waitcnt lgkmcnt(0)
	s_barrier
	ds_read_b32 v10, v10 offset:32768
	s_waitcnt lgkmcnt(0)
	s_barrier
.LBB3_422:
	v_cmp_ne_u32_e32 vcc, 0, v10
	s_cbranch_vccnz .LBB3_440
; %bb.423:
	ds_read_b32 v10, v24 offset:6144
	s_waitcnt lgkmcnt(0)
	s_barrier
	ds_write_b32 v27, v10
	s_waitcnt lgkmcnt(0)
	s_barrier
	s_and_saveexec_b64 s[24:25], s[12:13]
	s_cbranch_execz .LBB3_425
; %bb.424:
	ds_read2_b32 v[12:13], v25 offset1:1
	ds_read2_b32 v[16:17], v25 offset0:2 offset1:3
	ds_read2_b32 v[18:19], v25 offset0:4 offset1:5
	;; [unrolled: 1-line block ×3, first 2 shown]
	v_mbcnt_lo_u32_b32 v11, -1, 0
	s_waitcnt lgkmcnt(3)
	v_add_u32_e32 v29, v13, v12
	s_waitcnt lgkmcnt(2)
	v_add3_u32 v29, v29, v16, v17
	s_waitcnt lgkmcnt(1)
	v_add3_u32 v29, v29, v18, v19
	v_mbcnt_hi_u32_b32 v11, -1, v11
	s_waitcnt lgkmcnt(0)
	v_add3_u32 v29, v29, v20, v21
	v_and_b32_e32 v31, 15, v11
	v_cmp_ne_u32_e32 vcc, 0, v31
	v_mov_b32_dpp v32, v29 row_shr:1 row_mask:0xf bank_mask:0xf
	v_cndmask_b32_e32 v32, 0, v32, vcc
	v_add_u32_e32 v29, v32, v29
	v_cmp_lt_u32_e32 vcc, 1, v31
	s_nop 0
	v_mov_b32_dpp v32, v29 row_shr:2 row_mask:0xf bank_mask:0xf
	v_cndmask_b32_e32 v32, 0, v32, vcc
	v_add_u32_e32 v29, v29, v32
	v_cmp_lt_u32_e32 vcc, 3, v31
	s_nop 0
	v_mov_b32_dpp v32, v29 row_shr:4 row_mask:0xf bank_mask:0xf
	v_cndmask_b32_e32 v32, 0, v32, vcc
	v_add_u32_e32 v29, v29, v32
	v_cmp_lt_u32_e32 vcc, 7, v31
	s_nop 0
	v_mov_b32_dpp v32, v29 row_shr:8 row_mask:0xf bank_mask:0xf
	v_cndmask_b32_e32 v31, 0, v32, vcc
	v_add_u32_e32 v29, v29, v31
	v_bfe_i32 v32, v11, 4, 1
	v_cmp_lt_u32_e32 vcc, 31, v11
	v_mov_b32_dpp v31, v29 row_bcast:15 row_mask:0xf bank_mask:0xf
	v_and_b32_e32 v31, v32, v31
	v_add_u32_e32 v29, v29, v31
	v_and_b32_e32 v32, 64, v11
	s_nop 0
	v_mov_b32_dpp v31, v29 row_bcast:31 row_mask:0xf bank_mask:0xf
	v_cndmask_b32_e32 v31, 0, v31, vcc
	v_add_u32_e32 v29, v29, v31
	v_add_u32_e32 v31, -1, v11
	v_cmp_lt_i32_e32 vcc, v31, v32
	v_cndmask_b32_e32 v11, v31, v11, vcc
	v_lshlrev_b32_e32 v11, 2, v11
	ds_bpermute_b32 v11, v11, v29
	s_waitcnt lgkmcnt(0)
	v_add_u32_e32 v11, v11, v12
	v_cndmask_b32_e64 v10, v11, v10, s[10:11]
	v_add_u32_e32 v11, v10, v13
	ds_write2_b32 v25, v10, v11 offset1:1
	v_add_u32_e32 v10, v11, v16
	v_add_u32_e32 v11, v10, v17
	ds_write2_b32 v25, v10, v11 offset0:2 offset1:3
	v_add_u32_e32 v10, v11, v18
	v_add_u32_e32 v11, v10, v19
	ds_write2_b32 v25, v10, v11 offset0:4 offset1:5
	;; [unrolled: 3-line block ×3, first 2 shown]
.LBB3_425:
	s_or_b64 exec, exec, s[24:25]
	v_mov_b32_e32 v10, 0
	v_mov_b32_e32 v11, 0
	s_waitcnt lgkmcnt(0)
	s_barrier
	s_and_saveexec_b64 s[24:25], s[22:23]
	s_cbranch_execz .LBB3_427
; %bb.426:
	ds_read_b32 v11, v26
.LBB3_427:
	s_or_b64 exec, exec, s[24:25]
	ds_read_b32 v12, v10 offset:2104
	s_waitcnt lgkmcnt(1)
	v_add_u32_e32 v11, v11, v9
	v_cmp_lt_i32_e32 vcc, v11, v7
	ds_write_b32 v24, v11 offset:6144
	s_waitcnt lgkmcnt(0)
	s_barrier
	s_and_saveexec_b64 s[24:25], vcc
	s_cbranch_execz .LBB3_433
; %bb.428:
	v_add_u32_e32 v9, v12, v9
	s_and_saveexec_b64 s[26:27], s[14:15]
	s_cbranch_execz .LBB3_430
; %bb.429:
	ds_read_b32 v9, v24 offset:6148
.LBB3_430:
	s_or_b64 exec, exec, s[26:27]
	s_waitcnt lgkmcnt(0)
	v_cmp_ge_i32_e32 vcc, v9, v7
	v_mov_b32_e32 v10, 0
	s_and_saveexec_b64 s[26:27], vcc
	s_cbranch_execz .LBB3_432
; %bb.431:
	s_mov_b32 s28, 0x8000
	v_add_u32_e32 v10, 0x600, v14
	v_sub_u32_e32 v9, v9, v11
	v_add_u32_e64 v11, s28, 0
	ds_write2_b32 v11, v9, v10 offset0:65 offset1:67
	v_mov_b32_e32 v10, 1
.LBB3_432:
	s_or_b64 exec, exec, s[26:27]
.LBB3_433:
	s_or_b64 exec, exec, s[24:25]
	v_or_b32_dpp v9, v10, v10 row_shl:1 row_mask:0xf bank_mask:0xf bound_ctrl:1
	s_and_b64 vcc, exec, s[8:9]
	s_nop 0
	v_or_b32_dpp v9, v9, v9 row_shl:2 row_mask:0xf bank_mask:0xf bound_ctrl:1
	s_nop 1
	v_or_b32_dpp v9, v9, v9 row_shl:4 row_mask:0xf bank_mask:0xf bound_ctrl:1
	;; [unrolled: 2-line block ×3, first 2 shown]
	s_nop 1
	v_mov_b32_dpp v10, v9 wave_shl:1 row_mask:0xf bank_mask:0xf bound_ctrl:1
	s_nop 1
	v_or_b32_dpp v9, v10, v9 row_mirror row_mask:0xf bank_mask:0xf bound_ctrl:1
	v_readlane_b32 s24, v9, 32
	v_readlane_b32 s8, v9, 0
	s_cbranch_vccnz .LBB3_440
; %bb.434:
	v_mbcnt_lo_u32_b32 v9, -1, 0
	s_bitcmp1_b32 exec_hi, 0
	v_mbcnt_hi_u32_b32 v9, -1, v9
	s_cselect_b32 s9, s24, 0
	v_or_b32_e32 v10, v9, v28
	s_or_b32 s24, s9, s8
	v_cmp_eq_u32_e32 vcc, 0, v10
	s_and_saveexec_b64 s[8:9], vcc
	s_cbranch_execz .LBB3_436
; %bb.435:
	v_mov_b32_e32 v10, 0
	v_mov_b32_e32 v11, s24
	ds_write_b32 v10, v11 offset:32768
.LBB3_436:
	s_or_b64 exec, exec, s[8:9]
	v_cmp_eq_u32_e32 vcc, 0, v9
	s_and_b64 s[26:27], s[16:17], vcc
	s_waitcnt lgkmcnt(0)
	s_barrier
	s_and_saveexec_b64 s[8:9], s[26:27]
	s_cbranch_execz .LBB3_439
; %bb.437:
	v_mbcnt_lo_u32_b32 v9, exec_lo, 0
	v_mbcnt_hi_u32_b32 v9, exec_hi, v9
	v_cmp_eq_u32_e32 vcc, 0, v9
	s_and_b64 exec, exec, vcc
	s_cbranch_execz .LBB3_439
; %bb.438:
	v_mov_b32_e32 v9, 0
	v_mov_b32_e32 v10, s24
	ds_or_b32 v9, v10 offset:32768
.LBB3_439:
	s_or_b64 exec, exec, s[8:9]
	v_mov_b32_e32 v9, 0
	s_waitcnt lgkmcnt(0)
	s_barrier
	ds_read_b32 v9, v9 offset:32768
	s_waitcnt lgkmcnt(0)
	s_barrier
.LBB3_440:
	v_mov_b32_e32 v9, 0
	s_waitcnt lgkmcnt(0)
	s_barrier
	ds_read_b32 v29, v9 offset:33036
	s_and_saveexec_b64 s[8:9], s[6:7]
	s_xor_b64 s[8:9], exec, s[8:9]
	s_cbranch_execz .LBB3_454
; %bb.441:
	v_add_u32_e32 v9, v14, v2
	v_cmp_lt_i32_e32 vcc, v9, v8
	s_and_saveexec_b64 s[24:25], vcc
	s_cbranch_execz .LBB3_453
; %bb.442:
	v_mov_b32_e32 v12, 0
	ds_read_b32 v11, v12 offset:33028
	v_mul_lo_u32 v10, v6, v9
	v_lshlrev_b32_e32 v13, 9, v6
	s_mov_b64 s[30:31], 0
	s_waitcnt lgkmcnt(0)
	v_readfirstlane_b32 s26, v11
	s_cmpk_lt_i32 s26, 0x801
	s_cselect_b64 s[26:27], -1, 0
	s_ashr_i32 s35, s34, 31
	s_getpc_b64 s[28:29]
	s_add_u32 s28, s28, llvm.amdgcn.dynlds.offset.table@rel32@lo+4
	s_addc_u32 s29, s29, llvm.amdgcn.dynlds.offset.table@rel32@hi+12
	s_lshl_b64 vcc, s[34:35], 2
	s_add_u32 s28, vcc_lo, s28
	s_addc_u32 s29, vcc_hi, s29
	s_mov_b32 s35, 0x200000
	s_branch .LBB3_445
.LBB3_443:                              ;   in Loop: Header=BB3_445 Depth=1
	s_or_b64 exec, exec, s[42:43]
	s_waitcnt lgkmcnt(0)
	v_readfirstlane_b32 vcc_lo, v17
	v_add_lshl_u32 v16, vcc_lo, v16, 2
	ds_write2st64_b32 v16, v9, v11 offset1:32
.LBB3_444:                              ;   in Loop: Header=BB3_445 Depth=1
	s_or_b64 exec, exec, s[40:41]
	v_add_u32_e32 v9, 0x200, v9
	v_cmp_ge_i32_e32 vcc, v9, v8
	s_or_b64 s[30:31], vcc, s[30:31]
	v_add_u32_e32 v10, v10, v13
	s_andn2_b64 exec, exec, s[30:31]
	s_cbranch_execz .LBB3_453
.LBB3_445:                              ; =>This Inner Loop Header: Depth=1
	v_ashrrev_i32_e32 v11, 31, v10
	v_lshlrev_b64 v[16:17], 2, v[10:11]
	v_add_co_u32_e32 v16, vcc, v0, v16
	v_addc_co_u32_e32 v17, vcc, v1, v17, vcc
	flat_load_dword v11, v[16:17]
	s_waitcnt vmcnt(0) lgkmcnt(0)
	v_not_b32_e32 v16, v11
	v_and_b32_e32 v17, 0x7fe00000, v16
	v_cmp_gt_i32_e32 vcc, 0, v11
	v_cndmask_b32_e32 v17, v17, v11, vcc
	v_xor_b32_e32 v17, v17, v30
	v_cmp_gt_u32_e32 vcc, s35, v17
	s_and_saveexec_b64 s[40:41], vcc
	s_cbranch_execz .LBB3_444
; %bb.446:                              ;   in Loop: Header=BB3_445 Depth=1
	v_lshrrev_b32_e32 v17, 10, v11
	v_ashrrev_i32_e32 v16, 31, v16
	v_xor_b32_e32 v16, v17, v16
	v_and_b32_e32 v16, 0x7ff, v16
	v_cmp_lt_u32_e32 vcc, v16, v29
	s_and_saveexec_b64 s[42:43], vcc
	s_cbranch_execz .LBB3_450
; %bb.447:                              ;   in Loop: Header=BB3_445 Depth=1
	s_mov_b64 s[46:47], exec
	v_mbcnt_lo_u32_b32 v17, s46, 0
	v_mbcnt_hi_u32_b32 v17, s47, v17
	v_cmp_eq_u32_e32 vcc, 0, v17
                                        ; implicit-def: $vgpr18
	s_and_saveexec_b64 s[44:45], vcc
	s_cbranch_execz .LBB3_449
; %bb.448:                              ;   in Loop: Header=BB3_445 Depth=1
	s_bcnt1_i32_b64 vcc_lo, s[46:47]
	v_mov_b32_e32 v18, vcc_lo
	ds_add_rtn_u32 v18, v12, v18 offset:33032
.LBB3_449:                              ;   in Loop: Header=BB3_445 Depth=1
	s_or_b64 exec, exec, s[44:45]
	s_load_dword vcc_lo, s[28:29], 0x0
	s_waitcnt lgkmcnt(0)
	v_readfirstlane_b32 vcc_hi, v18
	v_add_u32_e32 v17, vcc_hi, v17
	v_lshl_add_u32 v17, v17, 2, vcc_lo
	ds_write_b32 v17, v9
.LBB3_450:                              ;   in Loop: Header=BB3_445 Depth=1
	s_or_b64 exec, exec, s[42:43]
	v_cmp_eq_u32_e32 vcc, v16, v29
	s_and_b64 vcc, vcc, s[26:27]
	s_and_b64 exec, exec, vcc
	s_cbranch_execz .LBB3_444
; %bb.451:                              ;   in Loop: Header=BB3_445 Depth=1
	s_mov_b64 s[44:45], exec
	v_mbcnt_lo_u32_b32 v16, s44, 0
	v_mbcnt_hi_u32_b32 v16, s45, v16
	v_cmp_eq_u32_e32 vcc, 0, v16
                                        ; implicit-def: $vgpr17
	s_and_saveexec_b64 s[42:43], vcc
	s_cbranch_execz .LBB3_443
; %bb.452:                              ;   in Loop: Header=BB3_445 Depth=1
	s_bcnt1_i32_b64 vcc_lo, s[44:45]
	v_mov_b32_e32 v17, vcc_lo
	ds_add_rtn_u32 v17, v12, v17 offset:33024
	s_branch .LBB3_443
.LBB3_453:
	s_or_b64 exec, exec, s[24:25]
.LBB3_454:
	s_andn2_saveexec_b64 s[24:25], s[8:9]
	s_cbranch_execz .LBB3_515
; %bb.455:
	v_lshlrev_b64 v[10:11], 2, v[2:3]
	v_add_co_u32_e32 v9, vcc, v0, v10
	v_and_b32_e32 v18, 15, v9
	v_mov_b32_e32 v19, 0
	v_addc_co_u32_e32 v31, vcc, v1, v11, vcc
	v_sub_u32_e32 v12, 16, v18
	v_lshrrev_b32_e32 v12, 2, v12
	v_cmp_ne_u64_e32 vcc, 0, v[18:19]
	v_cndmask_b32_e32 v12, 0, v12, vcc
	v_min_i32_e32 v16, v12, v22
	v_sub_u32_e32 v12, v22, v16
	v_ashrrev_i32_e32 v13, 31, v12
	v_lshrrev_b32_e32 v13, 30, v13
	v_add_u32_e32 v12, v12, v13
	v_ashrrev_i32_e32 v18, 2, v12
	s_mov_b64 s[26:27], 0
	v_ashrrev_i32_e32 v17, 31, v16
	v_cmp_gt_i32_e32 vcc, v18, v14
	s_and_saveexec_b64 s[28:29], vcc
	s_cbranch_execz .LBB3_494
; %bb.456:
	ds_read_b32 v12, v19 offset:33028
	v_lshlrev_b32_e32 v20, 4, v14
	v_lshl_add_u32 v32, v14, 2, v16
	s_waitcnt lgkmcnt(0)
	v_readfirstlane_b32 s8, v12
	s_cmpk_lt_i32 s8, 0x801
	s_cselect_b64 s[30:31], -1, 0
	s_ashr_i32 s35, s34, 31
	s_getpc_b64 s[8:9]
	s_add_u32 s8, s8, llvm.amdgcn.dynlds.offset.table@rel32@lo+4
	s_addc_u32 s9, s9, llvm.amdgcn.dynlds.offset.table@rel32@hi+12
	s_lshl_b64 vcc, s[34:35], 2
	s_add_u32 s40, vcc_lo, s8
	v_lshlrev_b64 v[12:13], 2, v[16:17]
	s_addc_u32 s41, vcc_hi, s9
	v_add_co_u32_e32 v12, vcc, v20, v12
	v_addc_co_u32_e32 v13, vcc, 0, v13, vcc
	v_add_co_u32_e32 v10, vcc, v12, v10
	v_addc_co_u32_e32 v11, vcc, v13, v11, vcc
	;; [unrolled: 2-line block ×3, first 2 shown]
	s_mov_b32 s35, 0x200000
	v_mov_b32_e32 v17, v14
	s_branch .LBB3_459
.LBB3_457:                              ;   in Loop: Header=BB3_459 Depth=1
	s_or_b64 exec, exec, s[42:43]
	s_waitcnt lgkmcnt(0)
	v_readfirstlane_b32 vcc_lo, v12
	v_add_lshl_u32 v11, vcc_lo, v11, 2
	ds_write2st64_b32 v11, v10, v13 offset1:32
.LBB3_458:                              ;   in Loop: Header=BB3_459 Depth=1
	s_or_b64 exec, exec, s[8:9]
	v_add_u32_e32 v17, 0x200, v17
	v_add_co_u32_e32 v20, vcc, 0x2000, v20
	v_cmp_ge_i32_e64 s[8:9], v17, v18
	v_add_u32_e32 v32, 0x800, v32
	s_or_b64 s[26:27], s[8:9], s[26:27]
	v_addc_co_u32_e32 v21, vcc, 0, v21, vcc
	s_andn2_b64 exec, exec, s[26:27]
	s_cbranch_execz .LBB3_494
.LBB3_459:                              ; =>This Inner Loop Header: Depth=1
	flat_load_dwordx4 v[10:13], v[20:21]
	s_waitcnt vmcnt(0) lgkmcnt(0)
	v_not_b32_e32 v33, v10
	v_and_b32_e32 v34, 0x7fe00000, v33
	v_cmp_gt_i32_e32 vcc, 0, v10
	v_cndmask_b32_e32 v34, v34, v10, vcc
	v_xor_b32_e32 v34, v34, v30
	v_cmp_gt_u32_e32 vcc, s35, v34
	s_and_saveexec_b64 s[8:9], vcc
	s_cbranch_execz .LBB3_468
; %bb.460:                              ;   in Loop: Header=BB3_459 Depth=1
	v_lshrrev_b32_e32 v34, 10, v10
	v_ashrrev_i32_e32 v33, 31, v33
	v_xor_b32_e32 v33, v34, v33
	v_and_b32_e32 v33, 0x7ff, v33
	v_cmp_lt_u32_e32 vcc, v33, v29
	s_and_saveexec_b64 s[42:43], vcc
	s_cbranch_execz .LBB3_464
; %bb.461:                              ;   in Loop: Header=BB3_459 Depth=1
	s_mov_b64 s[46:47], exec
	v_mbcnt_lo_u32_b32 v34, s46, 0
	v_mbcnt_hi_u32_b32 v34, s47, v34
	v_cmp_eq_u32_e32 vcc, 0, v34
                                        ; implicit-def: $vgpr35
	s_and_saveexec_b64 s[44:45], vcc
	s_cbranch_execz .LBB3_463
; %bb.462:                              ;   in Loop: Header=BB3_459 Depth=1
	s_bcnt1_i32_b64 vcc_lo, s[46:47]
	v_mov_b32_e32 v35, vcc_lo
	ds_add_rtn_u32 v35, v19, v35 offset:33032
.LBB3_463:                              ;   in Loop: Header=BB3_459 Depth=1
	s_or_b64 exec, exec, s[44:45]
	s_load_dword vcc_lo, s[40:41], 0x0
	s_waitcnt lgkmcnt(0)
	v_readfirstlane_b32 vcc_hi, v35
	v_add_u32_e32 v34, vcc_hi, v34
	v_lshl_add_u32 v34, v34, 2, vcc_lo
	ds_write_b32 v34, v32
.LBB3_464:                              ;   in Loop: Header=BB3_459 Depth=1
	s_or_b64 exec, exec, s[42:43]
	v_cmp_eq_u32_e32 vcc, v33, v29
	s_and_b64 vcc, vcc, s[30:31]
	s_and_b64 exec, exec, vcc
	s_cbranch_execz .LBB3_468
; %bb.465:                              ;   in Loop: Header=BB3_459 Depth=1
	s_mov_b64 s[44:45], exec
	v_mbcnt_lo_u32_b32 v33, s44, 0
	v_mbcnt_hi_u32_b32 v33, s45, v33
	v_cmp_eq_u32_e32 vcc, 0, v33
                                        ; implicit-def: $vgpr34
	s_and_saveexec_b64 s[42:43], vcc
	s_cbranch_execz .LBB3_467
; %bb.466:                              ;   in Loop: Header=BB3_459 Depth=1
	s_bcnt1_i32_b64 vcc_lo, s[44:45]
	v_mov_b32_e32 v34, vcc_lo
	ds_add_rtn_u32 v34, v19, v34 offset:33024
.LBB3_467:                              ;   in Loop: Header=BB3_459 Depth=1
	s_or_b64 exec, exec, s[42:43]
	s_waitcnt lgkmcnt(0)
	v_readfirstlane_b32 vcc_lo, v34
	v_add_lshl_u32 v33, vcc_lo, v33, 2
	ds_write2st64_b32 v33, v32, v10 offset1:32
.LBB3_468:                              ;   in Loop: Header=BB3_459 Depth=1
	s_or_b64 exec, exec, s[8:9]
	v_not_b32_e32 v33, v11
	v_and_b32_e32 v10, 0x7fe00000, v33
	v_cmp_gt_i32_e32 vcc, 0, v11
	v_cndmask_b32_e32 v10, v10, v11, vcc
	v_xor_b32_e32 v10, v10, v30
	v_cmp_gt_u32_e32 vcc, s35, v10
	s_and_saveexec_b64 s[8:9], vcc
	s_cbranch_execz .LBB3_477
; %bb.469:                              ;   in Loop: Header=BB3_459 Depth=1
	v_lshrrev_b32_e32 v34, 10, v11
	v_ashrrev_i32_e32 v33, 31, v33
	v_xor_b32_e32 v33, v34, v33
	v_and_b32_e32 v33, 0x7ff, v33
	v_add_u32_e32 v10, 1, v32
	v_cmp_lt_u32_e32 vcc, v33, v29
	s_and_saveexec_b64 s[42:43], vcc
	s_cbranch_execz .LBB3_473
; %bb.470:                              ;   in Loop: Header=BB3_459 Depth=1
	s_mov_b64 s[46:47], exec
	v_mbcnt_lo_u32_b32 v34, s46, 0
	v_mbcnt_hi_u32_b32 v34, s47, v34
	v_cmp_eq_u32_e32 vcc, 0, v34
                                        ; implicit-def: $vgpr35
	s_and_saveexec_b64 s[44:45], vcc
	s_cbranch_execz .LBB3_472
; %bb.471:                              ;   in Loop: Header=BB3_459 Depth=1
	s_bcnt1_i32_b64 vcc_lo, s[46:47]
	v_mov_b32_e32 v35, vcc_lo
	ds_add_rtn_u32 v35, v19, v35 offset:33032
.LBB3_472:                              ;   in Loop: Header=BB3_459 Depth=1
	s_or_b64 exec, exec, s[44:45]
	s_load_dword vcc_lo, s[40:41], 0x0
	s_waitcnt lgkmcnt(0)
	v_readfirstlane_b32 vcc_hi, v35
	v_add_u32_e32 v34, vcc_hi, v34
	v_lshl_add_u32 v34, v34, 2, vcc_lo
	ds_write_b32 v34, v10
.LBB3_473:                              ;   in Loop: Header=BB3_459 Depth=1
	s_or_b64 exec, exec, s[42:43]
	v_cmp_eq_u32_e32 vcc, v33, v29
	s_and_b64 vcc, vcc, s[30:31]
	s_and_b64 exec, exec, vcc
	s_cbranch_execz .LBB3_477
; %bb.474:                              ;   in Loop: Header=BB3_459 Depth=1
	s_mov_b64 s[44:45], exec
	v_mbcnt_lo_u32_b32 v33, s44, 0
	v_mbcnt_hi_u32_b32 v33, s45, v33
	v_cmp_eq_u32_e32 vcc, 0, v33
                                        ; implicit-def: $vgpr34
	s_and_saveexec_b64 s[42:43], vcc
	s_cbranch_execz .LBB3_476
; %bb.475:                              ;   in Loop: Header=BB3_459 Depth=1
	s_bcnt1_i32_b64 vcc_lo, s[44:45]
	v_mov_b32_e32 v34, vcc_lo
	ds_add_rtn_u32 v34, v19, v34 offset:33024
.LBB3_476:                              ;   in Loop: Header=BB3_459 Depth=1
	s_or_b64 exec, exec, s[42:43]
	s_waitcnt lgkmcnt(0)
	v_readfirstlane_b32 vcc_lo, v34
	v_add_lshl_u32 v33, vcc_lo, v33, 2
	ds_write2st64_b32 v33, v10, v11 offset1:32
.LBB3_477:                              ;   in Loop: Header=BB3_459 Depth=1
	s_or_b64 exec, exec, s[8:9]
	v_not_b32_e32 v11, v12
	v_and_b32_e32 v10, 0x7fe00000, v11
	v_cmp_gt_i32_e32 vcc, 0, v12
	v_cndmask_b32_e32 v10, v10, v12, vcc
	v_xor_b32_e32 v10, v10, v30
	v_cmp_gt_u32_e32 vcc, s35, v10
	s_and_saveexec_b64 s[8:9], vcc
	s_cbranch_execz .LBB3_486
; %bb.478:                              ;   in Loop: Header=BB3_459 Depth=1
	v_lshrrev_b32_e32 v33, 10, v12
	v_ashrrev_i32_e32 v11, 31, v11
	v_xor_b32_e32 v11, v33, v11
	v_and_b32_e32 v11, 0x7ff, v11
	v_add_u32_e32 v10, 2, v32
	v_cmp_lt_u32_e32 vcc, v11, v29
	s_and_saveexec_b64 s[42:43], vcc
	s_cbranch_execz .LBB3_482
; %bb.479:                              ;   in Loop: Header=BB3_459 Depth=1
	s_mov_b64 s[46:47], exec
	v_mbcnt_lo_u32_b32 v33, s46, 0
	v_mbcnt_hi_u32_b32 v33, s47, v33
	v_cmp_eq_u32_e32 vcc, 0, v33
                                        ; implicit-def: $vgpr34
	s_and_saveexec_b64 s[44:45], vcc
	s_cbranch_execz .LBB3_481
; %bb.480:                              ;   in Loop: Header=BB3_459 Depth=1
	s_bcnt1_i32_b64 vcc_lo, s[46:47]
	v_mov_b32_e32 v34, vcc_lo
	ds_add_rtn_u32 v34, v19, v34 offset:33032
.LBB3_481:                              ;   in Loop: Header=BB3_459 Depth=1
	s_or_b64 exec, exec, s[44:45]
	s_load_dword vcc_lo, s[40:41], 0x0
	s_waitcnt lgkmcnt(0)
	v_readfirstlane_b32 vcc_hi, v34
	v_add_u32_e32 v33, vcc_hi, v33
	v_lshl_add_u32 v33, v33, 2, vcc_lo
	ds_write_b32 v33, v10
.LBB3_482:                              ;   in Loop: Header=BB3_459 Depth=1
	s_or_b64 exec, exec, s[42:43]
	v_cmp_eq_u32_e32 vcc, v11, v29
	s_and_b64 vcc, vcc, s[30:31]
	s_and_b64 exec, exec, vcc
	s_cbranch_execz .LBB3_486
; %bb.483:                              ;   in Loop: Header=BB3_459 Depth=1
	s_mov_b64 s[44:45], exec
	v_mbcnt_lo_u32_b32 v11, s44, 0
	v_mbcnt_hi_u32_b32 v11, s45, v11
	v_cmp_eq_u32_e32 vcc, 0, v11
                                        ; implicit-def: $vgpr33
	s_and_saveexec_b64 s[42:43], vcc
	s_cbranch_execz .LBB3_485
; %bb.484:                              ;   in Loop: Header=BB3_459 Depth=1
	s_bcnt1_i32_b64 vcc_lo, s[44:45]
	v_mov_b32_e32 v33, vcc_lo
	ds_add_rtn_u32 v33, v19, v33 offset:33024
.LBB3_485:                              ;   in Loop: Header=BB3_459 Depth=1
	s_or_b64 exec, exec, s[42:43]
	s_waitcnt lgkmcnt(0)
	v_readfirstlane_b32 vcc_lo, v33
	v_add_lshl_u32 v11, vcc_lo, v11, 2
	ds_write2st64_b32 v11, v10, v12 offset1:32
.LBB3_486:                              ;   in Loop: Header=BB3_459 Depth=1
	s_or_b64 exec, exec, s[8:9]
	v_not_b32_e32 v11, v13
	v_and_b32_e32 v10, 0x7fe00000, v11
	v_cmp_gt_i32_e32 vcc, 0, v13
	v_cndmask_b32_e32 v10, v10, v13, vcc
	v_xor_b32_e32 v10, v10, v30
	v_cmp_gt_u32_e32 vcc, s35, v10
	s_and_saveexec_b64 s[8:9], vcc
	s_cbranch_execz .LBB3_458
; %bb.487:                              ;   in Loop: Header=BB3_459 Depth=1
	v_lshrrev_b32_e32 v12, 10, v13
	v_ashrrev_i32_e32 v11, 31, v11
	v_xor_b32_e32 v11, v12, v11
	v_and_b32_e32 v11, 0x7ff, v11
	v_add_u32_e32 v10, 3, v32
	v_cmp_lt_u32_e32 vcc, v11, v29
	s_and_saveexec_b64 s[42:43], vcc
	s_cbranch_execz .LBB3_491
; %bb.488:                              ;   in Loop: Header=BB3_459 Depth=1
	s_mov_b64 s[46:47], exec
	v_mbcnt_lo_u32_b32 v12, s46, 0
	v_mbcnt_hi_u32_b32 v12, s47, v12
	v_cmp_eq_u32_e32 vcc, 0, v12
                                        ; implicit-def: $vgpr33
	s_and_saveexec_b64 s[44:45], vcc
	s_cbranch_execz .LBB3_490
; %bb.489:                              ;   in Loop: Header=BB3_459 Depth=1
	s_bcnt1_i32_b64 vcc_lo, s[46:47]
	v_mov_b32_e32 v33, vcc_lo
	ds_add_rtn_u32 v33, v19, v33 offset:33032
.LBB3_490:                              ;   in Loop: Header=BB3_459 Depth=1
	s_or_b64 exec, exec, s[44:45]
	s_load_dword vcc_lo, s[40:41], 0x0
	s_waitcnt lgkmcnt(0)
	v_readfirstlane_b32 vcc_hi, v33
	v_add_u32_e32 v12, vcc_hi, v12
	v_lshl_add_u32 v12, v12, 2, vcc_lo
	ds_write_b32 v12, v10
.LBB3_491:                              ;   in Loop: Header=BB3_459 Depth=1
	s_or_b64 exec, exec, s[42:43]
	v_cmp_eq_u32_e32 vcc, v11, v29
	s_and_b64 vcc, vcc, s[30:31]
	s_and_b64 exec, exec, vcc
	s_cbranch_execz .LBB3_458
; %bb.492:                              ;   in Loop: Header=BB3_459 Depth=1
	s_mov_b64 s[44:45], exec
	v_mbcnt_lo_u32_b32 v11, s44, 0
	v_mbcnt_hi_u32_b32 v11, s45, v11
	v_cmp_eq_u32_e32 vcc, 0, v11
                                        ; implicit-def: $vgpr12
	s_and_saveexec_b64 s[42:43], vcc
	s_cbranch_execz .LBB3_457
; %bb.493:                              ;   in Loop: Header=BB3_459 Depth=1
	s_bcnt1_i32_b64 vcc_lo, s[44:45]
	v_mov_b32_e32 v12, vcc_lo
	ds_add_rtn_u32 v12, v19, v12 offset:33024
	s_branch .LBB3_457
.LBB3_494:
	s_or_b64 exec, exec, s[28:29]
	v_cmp_gt_u32_e32 vcc, v16, v14
	s_and_saveexec_b64 s[8:9], vcc
	s_cbranch_execz .LBB3_504
; %bb.495:
	v_add_co_u32_e32 v10, vcc, v9, v15
	v_addc_co_u32_e32 v11, vcc, 0, v31, vcc
	flat_load_dword v10, v[10:11]
	s_mov_b32 s26, 0x200000
	s_waitcnt vmcnt(0) lgkmcnt(0)
	v_not_b32_e32 v11, v10
	v_and_b32_e32 v12, 0x7fe00000, v11
	v_cmp_gt_i32_e32 vcc, 0, v10
	v_cndmask_b32_e32 v12, v12, v10, vcc
	v_xor_b32_e32 v12, v12, v30
	v_cmp_gt_u32_e32 vcc, s26, v12
	s_and_b64 exec, exec, vcc
	s_cbranch_execz .LBB3_504
; %bb.496:
	v_lshrrev_b32_e32 v12, 10, v10
	v_ashrrev_i32_e32 v11, 31, v11
	v_xor_b32_e32 v11, v12, v11
	v_and_b32_e32 v11, 0x7ff, v11
	v_cmp_lt_u32_e32 vcc, v11, v29
	s_and_saveexec_b64 s[26:27], vcc
	s_cbranch_execz .LBB3_500
; %bb.497:
	s_mov_b64 s[30:31], exec
	v_mbcnt_lo_u32_b32 v12, s30, 0
	v_mbcnt_hi_u32_b32 v12, s31, v12
	v_cmp_eq_u32_e32 vcc, 0, v12
                                        ; implicit-def: $vgpr13
	s_and_saveexec_b64 s[28:29], vcc
	s_cbranch_execz .LBB3_499
; %bb.498:
	s_bcnt1_i32_b64 vcc_lo, s[30:31]
	v_mov_b32_e32 v13, 0
	v_mov_b32_e32 v17, vcc_lo
	ds_add_rtn_u32 v13, v13, v17 offset:33032
.LBB3_499:
	s_or_b64 exec, exec, s[28:29]
	s_ashr_i32 s35, s34, 31
	s_lshl_b64 s[28:29], s[34:35], 2
	s_getpc_b64 vcc
	s_add_u32 vcc_lo, vcc_lo, llvm.amdgcn.dynlds.offset.table@rel32@lo+4
	s_addc_u32 vcc_hi, vcc_hi, llvm.amdgcn.dynlds.offset.table@rel32@hi+12
	s_add_u32 s28, s28, vcc_lo
	s_addc_u32 s29, s29, vcc_hi
	s_load_dword s28, s[28:29], 0x0
	s_waitcnt lgkmcnt(0)
	v_readfirstlane_b32 s29, v13
	v_add_u32_e32 v12, s29, v12
	v_lshl_add_u32 v12, v12, 2, s28
	ds_write_b32 v12, v14
.LBB3_500:
	s_or_b64 exec, exec, s[26:27]
	v_mov_b32_e32 v12, 0
	ds_read_b32 v12, v12 offset:33028
	v_cmp_eq_u32_e32 vcc, v11, v29
	s_waitcnt lgkmcnt(0)
	v_readfirstlane_b32 s26, v12
	s_cmpk_lt_i32 s26, 0x801
	s_cselect_b64 s[26:27], -1, 0
	s_and_b64 s[26:27], vcc, s[26:27]
	s_and_b64 exec, exec, s[26:27]
	s_cbranch_execz .LBB3_504
; %bb.501:
	s_mov_b64 s[28:29], exec
	v_mbcnt_lo_u32_b32 v11, s28, 0
	v_mbcnt_hi_u32_b32 v11, s29, v11
	v_cmp_eq_u32_e32 vcc, 0, v11
                                        ; implicit-def: $vgpr12
	s_and_saveexec_b64 s[26:27], vcc
	s_cbranch_execz .LBB3_503
; %bb.502:
	s_bcnt1_i32_b64 s28, s[28:29]
	v_mov_b32_e32 v12, 0
	v_mov_b32_e32 v13, s28
	ds_add_rtn_u32 v12, v12, v13 offset:33024
.LBB3_503:
	s_or_b64 exec, exec, s[26:27]
	s_waitcnt lgkmcnt(0)
	v_readfirstlane_b32 s26, v12
	v_add_lshl_u32 v11, s26, v11, 2
	ds_write2st64_b32 v11, v14, v10 offset1:32
.LBB3_504:
	s_or_b64 exec, exec, s[8:9]
	v_lshlrev_b32_e32 v10, 2, v18
	v_add3_u32 v10, v16, v14, v10
	v_cmp_lt_i32_e32 vcc, v10, v22
	s_and_saveexec_b64 s[8:9], vcc
	s_cbranch_execz .LBB3_514
; %bb.505:
	v_ashrrev_i32_e32 v11, 31, v10
	v_lshlrev_b64 v[12:13], 2, v[10:11]
	v_add_co_u32_e32 v12, vcc, v9, v12
	v_addc_co_u32_e32 v13, vcc, v31, v13, vcc
	flat_load_dword v9, v[12:13]
	s_mov_b32 s26, 0x200000
	s_waitcnt vmcnt(0) lgkmcnt(0)
	v_not_b32_e32 v11, v9
	v_and_b32_e32 v12, 0x7fe00000, v11
	v_cmp_gt_i32_e32 vcc, 0, v9
	v_cndmask_b32_e32 v12, v12, v9, vcc
	v_xor_b32_e32 v12, v12, v30
	v_cmp_gt_u32_e32 vcc, s26, v12
	s_and_b64 exec, exec, vcc
	s_cbranch_execz .LBB3_514
; %bb.506:
	v_lshrrev_b32_e32 v12, 10, v9
	v_ashrrev_i32_e32 v11, 31, v11
	v_xor_b32_e32 v11, v12, v11
	v_and_b32_e32 v11, 0x7ff, v11
	v_cmp_lt_u32_e32 vcc, v11, v29
	s_and_saveexec_b64 s[26:27], vcc
	s_cbranch_execz .LBB3_510
; %bb.507:
	s_mov_b64 s[30:31], exec
	v_mbcnt_lo_u32_b32 v12, s30, 0
	v_mbcnt_hi_u32_b32 v12, s31, v12
	v_cmp_eq_u32_e32 vcc, 0, v12
                                        ; implicit-def: $vgpr13
	s_and_saveexec_b64 s[28:29], vcc
	s_cbranch_execz .LBB3_509
; %bb.508:
	s_bcnt1_i32_b64 vcc_lo, s[30:31]
	v_mov_b32_e32 v13, 0
	v_mov_b32_e32 v16, vcc_lo
	ds_add_rtn_u32 v13, v13, v16 offset:33032
.LBB3_509:
	s_or_b64 exec, exec, s[28:29]
	s_ashr_i32 s35, s34, 31
	s_lshl_b64 s[28:29], s[34:35], 2
	s_getpc_b64 vcc
	s_add_u32 vcc_lo, vcc_lo, llvm.amdgcn.dynlds.offset.table@rel32@lo+4
	s_addc_u32 vcc_hi, vcc_hi, llvm.amdgcn.dynlds.offset.table@rel32@hi+12
	s_add_u32 s28, s28, vcc_lo
	s_addc_u32 s29, s29, vcc_hi
	s_load_dword s28, s[28:29], 0x0
	s_waitcnt lgkmcnt(0)
	v_readfirstlane_b32 s29, v13
	v_add_u32_e32 v12, s29, v12
	v_lshl_add_u32 v12, v12, 2, s28
	ds_write_b32 v12, v10
.LBB3_510:
	s_or_b64 exec, exec, s[26:27]
	v_mov_b32_e32 v12, 0
	ds_read_b32 v12, v12 offset:33028
	v_cmp_eq_u32_e32 vcc, v11, v29
	s_waitcnt lgkmcnt(0)
	v_readfirstlane_b32 s26, v12
	s_cmpk_lt_i32 s26, 0x801
	s_cselect_b64 s[26:27], -1, 0
	s_and_b64 s[26:27], vcc, s[26:27]
	s_and_b64 exec, exec, s[26:27]
	s_cbranch_execz .LBB3_514
; %bb.511:
	s_mov_b64 s[28:29], exec
	v_mbcnt_lo_u32_b32 v11, s28, 0
	v_mbcnt_hi_u32_b32 v11, s29, v11
	v_cmp_eq_u32_e32 vcc, 0, v11
                                        ; implicit-def: $vgpr12
	s_and_saveexec_b64 s[26:27], vcc
	s_cbranch_execz .LBB3_513
; %bb.512:
	s_bcnt1_i32_b64 s28, s[28:29]
	v_mov_b32_e32 v12, 0
	v_mov_b32_e32 v13, s28
	ds_add_rtn_u32 v12, v12, v13 offset:33024
.LBB3_513:
	s_or_b64 exec, exec, s[26:27]
	s_waitcnt lgkmcnt(0)
	v_readfirstlane_b32 s26, v12
	v_add_lshl_u32 v11, s26, v11, 2
	ds_write2st64_b32 v11, v10, v9 offset1:32
.LBB3_514:
	s_or_b64 exec, exec, s[8:9]
.LBB3_515:
	s_or_b64 exec, exec, s[24:25]
	v_mov_b32_e32 v9, 0
	s_waitcnt lgkmcnt(0)
	s_barrier
	ds_read_b32 v9, v9 offset:33028
	s_movk_i32 s8, 0x800
	s_waitcnt lgkmcnt(0)
	v_cmp_lt_i32_e64 s[8:9], s8, v9
	s_andn2_b64 vcc, exec, s[8:9]
	s_mov_b64 s[8:9], -1
	s_cbranch_vccz .LBB3_533
.LBB3_516:
	v_mov_b32_e32 v9, 0
	ds_read_b32 v10, v9 offset:33024
	s_waitcnt lgkmcnt(0)
	v_readfirstlane_b32 s50, v10
	v_cmp_lt_i32_e32 vcc, v14, v10
	s_and_saveexec_b64 s[40:41], vcc
	s_cbranch_execz .LBB3_532
; %bb.517:
	s_cmp_gt_u32 s50, 1
	s_cselect_b64 s[42:43], -1, 0
	s_and_b32 s51, s50, -2
	s_cmp_lg_u32 s50, s51
	ds_read_b32 v13, v9 offset:33032
	s_cselect_b64 s[44:45], -1, 0
	s_ashr_i32 s35, s34, 31
	s_lshl_b64 s[8:9], s[34:35], 2
	s_getpc_b64 s[24:25]
	s_add_u32 s24, s24, llvm.amdgcn.dynlds.offset.table@rel32@lo+4
	s_addc_u32 s25, s25, llvm.amdgcn.dynlds.offset.table@rel32@hi+12
	s_add_u32 s46, s8, s24
	s_addc_u32 s47, s9, s25
	s_mov_b64 s[48:49], 0
	v_mov_b32_e32 v10, v14
	s_branch .LBB3_519
.LBB3_518:                              ;   in Loop: Header=BB3_519 Depth=1
	s_or_b64 exec, exec, s[8:9]
	v_add_u32_e32 v10, 0x200, v10
	v_cmp_le_i32_e32 vcc, s50, v10
	s_or_b64 s[48:49], vcc, s[48:49]
	s_andn2_b64 exec, exec, s[48:49]
	s_cbranch_execz .LBB3_532
.LBB3_519:                              ; =>This Loop Header: Depth=1
                                        ;     Child Loop BB3_521 Depth 2
                                        ;     Child Loop BB3_526 Depth 2
	v_lshlrev_b32_e32 v16, 2, v10
	s_waitcnt lgkmcnt(0)
	ds_read_b32 v12, v16 offset:8192
	s_and_b64 vcc, exec, s[42:43]
	v_mov_b32_e32 v9, 0
	s_cbranch_vccz .LBB3_523
; %bb.520:                              ;   in Loop: Header=BB3_519 Depth=1
	s_waitcnt lgkmcnt(0)
	v_mov_b32_e32 v9, v12
	v_mov_b32_e32 v11, v10
	s_mov_b32 s35, 1
	s_mov_b32 s52, 0
	s_movk_i32 s53, 0x2000
	v_mov_b32_e32 v17, 0
	s_mov_b32 s54, s51
	v_mov_b32_e32 v18, 0
.LBB3_521:                              ;   Parent Loop BB3_519 Depth=1
                                        ; =>  This Inner Loop Header: Depth=2
	v_mov_b32_e32 v19, s53
	ds_read_b64 v[20:21], v19
	v_cmp_gt_u32_e64 s[8:9], s35, v11
	v_cmp_gt_u32_e32 vcc, s52, v10
	s_add_i32 s52, s52, 2
	s_add_i32 s35, s35, 2
	s_waitcnt lgkmcnt(0)
	v_cmp_eq_f32_e64 s[30:31], v9, v21
	v_cmp_lt_f32_e64 s[24:25], v9, v21
	v_cmp_eq_f32_e64 s[28:29], v12, v20
	s_and_b64 s[8:9], s[8:9], s[30:31]
	s_and_b64 s[28:29], vcc, s[28:29]
	s_or_b64 vcc, s[24:25], s[8:9]
	v_cmp_lt_f32_e64 s[26:27], v12, v20
	v_addc_co_u32_e32 v18, vcc, 0, v18, vcc
	s_add_i32 s53, s53, 8
	s_add_i32 s54, s54, -2
	s_or_b64 vcc, s[26:27], s[28:29]
	s_cmp_lg_u32 s54, 0
	v_addc_co_u32_e32 v17, vcc, 0, v17, vcc
	s_cbranch_scc1 .LBB3_521
; %bb.522:                              ;   in Loop: Header=BB3_519 Depth=1
	v_add_u32_e32 v9, v17, v18
	s_mov_b32 s28, s51
	s_mov_b64 s[8:9], s[44:45]
	s_and_b64 vcc, exec, s[8:9]
	s_cbranch_vccnz .LBB3_524
	s_branch .LBB3_530
.LBB3_523:                              ;   in Loop: Header=BB3_519 Depth=1
	s_mov_b32 s28, 0
	s_cbranch_execz .LBB3_530
.LBB3_524:                              ;   in Loop: Header=BB3_519 Depth=1
	s_lshl_b32 s8, s28, 2
	s_add_i32 s29, s8, 0x2000
	s_branch .LBB3_526
.LBB3_525:                              ;   in Loop: Header=BB3_526 Depth=2
	s_or_b64 exec, exec, s[8:9]
	s_add_i32 s28, s28, 1
	s_add_i32 s29, s29, 4
	s_cmp_eq_u32 s50, s28
	s_cbranch_scc1 .LBB3_530
.LBB3_526:                              ;   Parent Loop BB3_519 Depth=1
                                        ; =>  This Inner Loop Header: Depth=2
	v_mov_b32_e32 v11, s29
	ds_read_b32 v11, v11
	s_waitcnt lgkmcnt(0)
	v_cmp_lt_f32_e64 s[24:25], v12, v11
	v_cmp_nlt_f32_e32 vcc, v12, v11
	s_and_saveexec_b64 s[26:27], vcc
; %bb.527:                              ;   in Loop: Header=BB3_526 Depth=2
	v_cmp_eq_f32_e32 vcc, v12, v11
	v_cmp_gt_u32_e64 s[8:9], s28, v10
	s_and_b64 s[8:9], s[8:9], vcc
	s_andn2_b64 s[24:25], s[24:25], exec
	s_and_b64 s[8:9], s[8:9], exec
	s_or_b64 s[24:25], s[24:25], s[8:9]
; %bb.528:                              ;   in Loop: Header=BB3_526 Depth=2
	s_or_b64 exec, exec, s[26:27]
	s_and_saveexec_b64 s[8:9], s[24:25]
	s_cbranch_execz .LBB3_525
; %bb.529:                              ;   in Loop: Header=BB3_526 Depth=2
	v_add_u32_e32 v9, 1, v9
	s_branch .LBB3_525
.LBB3_530:                              ;   in Loop: Header=BB3_519 Depth=1
	s_waitcnt lgkmcnt(1)
	v_add_u32_e32 v9, v9, v13
	v_cmp_lt_i32_e32 vcc, v9, v7
	s_and_saveexec_b64 s[8:9], vcc
	s_cbranch_execz .LBB3_518
; %bb.531:                              ;   in Loop: Header=BB3_519 Depth=1
	s_load_dword s24, s[46:47], 0x0
	ds_read_b32 v11, v16
	s_waitcnt lgkmcnt(0)
	v_lshl_add_u32 v9, v9, 2, s24
	ds_write_b32 v9, v11
	s_branch .LBB3_518
.LBB3_532:
	s_or_b64 exec, exec, s[40:41]
	s_mov_b64 s[8:9], 0
	s_waitcnt lgkmcnt(0)
	s_barrier
.LBB3_533:
	s_and_b64 vcc, exec, s[8:9]
	s_cbranch_vccnz .LBB3_535
; %bb.534:
	v_cmp_lt_i32_e32 vcc, v14, v7
	s_and_saveexec_b64 s[6:7], vcc
	s_cbranch_execnz .LBB3_719
	s_branch .LBB3_721
.LBB3_535:
	v_mov_b32_e32 v9, 0
	ds_write_b32 v15, v9 offset:2112
	ds_write_b32 v24, v9 offset:2048
	s_and_saveexec_b64 s[8:9], s[20:21]
	s_cbranch_execz .LBB3_537
; %bb.536:
	ds_write_b32 v24, v9 offset:4096
.LBB3_537:
	s_or_b64 exec, exec, s[8:9]
	s_and_saveexec_b64 s[8:9], s[18:19]
	s_cbranch_execz .LBB3_539
; %bb.538:
	v_mov_b32_e32 v9, 0
	ds_write_b32 v24, v9 offset:6144
.LBB3_539:
	s_or_b64 exec, exec, s[8:9]
	v_lshlrev_b32_e32 v9, 10, v29
	v_and_b32_e32 v9, 0x1ffc00, v9
	v_or_b32_e32 v20, v9, v30
	s_waitcnt lgkmcnt(0)
	s_barrier
	s_and_saveexec_b64 s[8:9], s[6:7]
	s_xor_b64 s[8:9], exec, s[8:9]
	s_cbranch_execz .LBB3_546
; %bb.540:
	v_add_u32_e32 v9, v14, v2
	v_cmp_lt_i32_e32 vcc, v9, v8
	s_and_saveexec_b64 s[18:19], vcc
	s_cbranch_execz .LBB3_545
; %bb.541:
	v_mul_lo_u32 v10, v6, v9
	v_lshlrev_b32_e32 v12, 9, v6
	s_mov_b64 s[20:21], 0
	s_movk_i32 s26, 0x400
	v_mov_b32_e32 v13, 1
	s_branch .LBB3_543
.LBB3_542:                              ;   in Loop: Header=BB3_543 Depth=1
	s_or_b64 exec, exec, s[24:25]
	v_add_u32_e32 v9, 0x200, v9
	v_cmp_ge_i32_e32 vcc, v9, v8
	s_or_b64 s[20:21], vcc, s[20:21]
	v_add_u32_e32 v10, v10, v12
	s_andn2_b64 exec, exec, s[20:21]
	s_cbranch_execz .LBB3_545
.LBB3_543:                              ; =>This Inner Loop Header: Depth=1
	v_ashrrev_i32_e32 v11, 31, v10
	v_lshlrev_b64 v[16:17], 2, v[10:11]
	v_add_co_u32_e32 v16, vcc, v0, v16
	v_addc_co_u32_e32 v17, vcc, v1, v17, vcc
	flat_load_dword v11, v[16:17]
	s_waitcnt vmcnt(0) lgkmcnt(0)
	v_not_b32_e32 v16, v11
	v_and_b32_e32 v17, 0x7ffffc00, v16
	v_cmp_gt_i32_e32 vcc, 0, v11
	v_cndmask_b32_e32 v17, v17, v11, vcc
	v_xor_b32_e32 v17, v17, v20
	v_cmp_gt_u32_e32 vcc, s26, v17
	s_and_saveexec_b64 s[24:25], vcc
	s_cbranch_execz .LBB3_542
; %bb.544:                              ;   in Loop: Header=BB3_543 Depth=1
	v_ashrrev_i32_e32 v16, 31, v16
	v_xor_b32_e32 v11, v11, v16
	v_and_b32_e32 v11, 0x3ff, v11
	v_lshlrev_b32_e32 v11, 2, v11
	ds_add_u32 v11, v13 offset:2112
	s_branch .LBB3_542
.LBB3_545:
	s_or_b64 exec, exec, s[18:19]
.LBB3_546:
	s_andn2_saveexec_b64 s[18:19], s[8:9]
	s_cbranch_execz .LBB3_565
; %bb.547:
	v_lshlrev_b64 v[10:11], 2, v[2:3]
	v_add_co_u32_e32 v9, vcc, v0, v10
	v_and_b32_e32 v12, 15, v9
	v_addc_co_u32_e32 v21, vcc, v1, v11, vcc
	v_mov_b32_e32 v13, 0
	v_sub_u32_e32 v16, 16, v12
	v_lshrrev_b32_e32 v16, 2, v16
	v_cmp_ne_u64_e32 vcc, 0, v[12:13]
	v_cndmask_b32_e32 v12, 0, v16, vcc
	v_min_i32_e32 v16, v12, v22
	v_sub_u32_e32 v12, v22, v16
	v_ashrrev_i32_e32 v13, 31, v12
	v_lshrrev_b32_e32 v13, 30, v13
	v_add_u32_e32 v12, v12, v13
	v_ashrrev_i32_e32 v29, 2, v12
	s_mov_b64 s[20:21], 0
	v_ashrrev_i32_e32 v17, 31, v16
	v_cmp_gt_i32_e32 vcc, v29, v14
	s_and_saveexec_b64 s[24:25], vcc
	s_cbranch_execz .LBB3_558
; %bb.548:
	v_lshlrev_b32_e32 v18, 4, v14
	v_lshlrev_b64 v[12:13], 2, v[16:17]
	v_add_co_u32_e32 v12, vcc, v18, v12
	v_addc_co_u32_e32 v13, vcc, 0, v13, vcc
	v_add_co_u32_e32 v10, vcc, v12, v10
	v_addc_co_u32_e32 v11, vcc, v13, v11, vcc
	;; [unrolled: 2-line block ×3, first 2 shown]
	s_movk_i32 s26, 0x400
	v_mov_b32_e32 v17, 1
	v_mov_b32_e32 v30, v14
	s_branch .LBB3_550
.LBB3_549:                              ;   in Loop: Header=BB3_550 Depth=1
	s_or_b64 exec, exec, s[8:9]
	v_add_u32_e32 v30, 0x200, v30
	v_add_co_u32_e32 v18, vcc, 0x2000, v18
	v_cmp_ge_i32_e64 s[8:9], v30, v29
	s_or_b64 s[20:21], s[8:9], s[20:21]
	v_addc_co_u32_e32 v19, vcc, 0, v19, vcc
	s_andn2_b64 exec, exec, s[20:21]
	s_cbranch_execz .LBB3_558
.LBB3_550:                              ; =>This Inner Loop Header: Depth=1
	flat_load_dwordx4 v[10:13], v[18:19]
	s_waitcnt vmcnt(0) lgkmcnt(0)
	v_not_b32_e32 v31, v10
	v_and_b32_e32 v32, 0x7ffffc00, v31
	v_cmp_gt_i32_e32 vcc, 0, v10
	v_cndmask_b32_e32 v32, v32, v10, vcc
	v_xor_b32_e32 v32, v32, v20
	v_cmp_gt_u32_e32 vcc, s26, v32
	s_and_saveexec_b64 s[8:9], vcc
	s_cbranch_execz .LBB3_552
; %bb.551:                              ;   in Loop: Header=BB3_550 Depth=1
	v_ashrrev_i32_e32 v31, 31, v31
	v_xor_b32_e32 v10, v10, v31
	v_and_b32_e32 v10, 0x3ff, v10
	v_lshlrev_b32_e32 v10, 2, v10
	ds_add_u32 v10, v17 offset:2112
.LBB3_552:                              ;   in Loop: Header=BB3_550 Depth=1
	s_or_b64 exec, exec, s[8:9]
	v_not_b32_e32 v10, v11
	v_and_b32_e32 v31, 0x7ffffc00, v10
	v_cmp_gt_i32_e32 vcc, 0, v11
	v_cndmask_b32_e32 v31, v31, v11, vcc
	v_xor_b32_e32 v31, v31, v20
	v_cmp_gt_u32_e32 vcc, s26, v31
	s_and_saveexec_b64 s[8:9], vcc
	s_cbranch_execz .LBB3_554
; %bb.553:                              ;   in Loop: Header=BB3_550 Depth=1
	v_ashrrev_i32_e32 v10, 31, v10
	v_xor_b32_e32 v10, v11, v10
	v_and_b32_e32 v10, 0x3ff, v10
	v_lshlrev_b32_e32 v10, 2, v10
	ds_add_u32 v10, v17 offset:2112
.LBB3_554:                              ;   in Loop: Header=BB3_550 Depth=1
	s_or_b64 exec, exec, s[8:9]
	;; [unrolled: 16-line block ×3, first 2 shown]
	v_not_b32_e32 v10, v13
	v_and_b32_e32 v11, 0x7ffffc00, v10
	v_cmp_gt_i32_e32 vcc, 0, v13
	v_cndmask_b32_e32 v11, v11, v13, vcc
	v_xor_b32_e32 v11, v11, v20
	v_cmp_gt_u32_e32 vcc, s26, v11
	s_and_saveexec_b64 s[8:9], vcc
	s_cbranch_execz .LBB3_549
; %bb.557:                              ;   in Loop: Header=BB3_550 Depth=1
	v_ashrrev_i32_e32 v10, 31, v10
	v_xor_b32_e32 v10, v13, v10
	v_and_b32_e32 v10, 0x3ff, v10
	v_lshlrev_b32_e32 v10, 2, v10
	ds_add_u32 v10, v17 offset:2112
	s_branch .LBB3_549
.LBB3_558:
	s_or_b64 exec, exec, s[24:25]
	v_cmp_gt_u32_e32 vcc, v16, v14
	s_and_saveexec_b64 s[8:9], vcc
	s_cbranch_execz .LBB3_561
; %bb.559:
	v_add_co_u32_e32 v10, vcc, v9, v15
	v_addc_co_u32_e32 v11, vcc, 0, v21, vcc
	flat_load_dword v10, v[10:11]
	s_movk_i32 s20, 0x400
	s_waitcnt vmcnt(0) lgkmcnt(0)
	v_not_b32_e32 v11, v10
	v_and_b32_e32 v12, 0x7ffffc00, v11
	v_cmp_gt_i32_e32 vcc, 0, v10
	v_cndmask_b32_e32 v12, v12, v10, vcc
	v_xor_b32_e32 v12, v12, v20
	v_cmp_gt_u32_e32 vcc, s20, v12
	s_and_b64 exec, exec, vcc
	s_cbranch_execz .LBB3_561
; %bb.560:
	v_ashrrev_i32_e32 v11, 31, v11
	v_xor_b32_e32 v10, v10, v11
	v_and_b32_e32 v10, 0x3ff, v10
	v_lshlrev_b32_e32 v10, 2, v10
	v_mov_b32_e32 v11, 1
	ds_add_u32 v10, v11 offset:2112
.LBB3_561:
	s_or_b64 exec, exec, s[8:9]
	v_lshlrev_b32_e32 v10, 2, v29
	v_add3_u32 v10, v16, v14, v10
	v_cmp_lt_i32_e32 vcc, v10, v22
	s_and_saveexec_b64 s[8:9], vcc
	s_cbranch_execz .LBB3_564
; %bb.562:
	v_ashrrev_i32_e32 v11, 31, v10
	v_lshlrev_b64 v[10:11], 2, v[10:11]
	v_add_co_u32_e32 v10, vcc, v9, v10
	v_addc_co_u32_e32 v11, vcc, v21, v11, vcc
	flat_load_dword v9, v[10:11]
	s_movk_i32 s20, 0x400
	s_waitcnt vmcnt(0) lgkmcnt(0)
	v_not_b32_e32 v10, v9
	v_and_b32_e32 v11, 0x7ffffc00, v10
	v_cmp_gt_i32_e32 vcc, 0, v9
	v_cndmask_b32_e32 v11, v11, v9, vcc
	v_xor_b32_e32 v11, v11, v20
	v_cmp_gt_u32_e32 vcc, s20, v11
	s_and_b64 exec, exec, vcc
	s_cbranch_execz .LBB3_564
; %bb.563:
	v_ashrrev_i32_e32 v10, 31, v10
	v_xor_b32_e32 v9, v9, v10
	v_and_b32_e32 v9, 0x3ff, v9
	v_lshlrev_b32_e32 v9, 2, v9
	v_mov_b32_e32 v10, 1
	ds_add_u32 v9, v10 offset:2112
.LBB3_564:
	s_or_b64 exec, exec, s[8:9]
.LBB3_565:
	s_or_b64 exec, exec, s[18:19]
	s_waitcnt lgkmcnt(0)
	s_barrier
	v_mov_b32_e32 v10, 0
	ds_read_b32 v11, v15 offset:2112
	ds_read_b32 v9, v10 offset:33032
	s_waitcnt lgkmcnt(0)
	s_barrier
	ds_write_b32 v27, v11
	s_waitcnt lgkmcnt(0)
	s_barrier
	s_and_saveexec_b64 s[8:9], s[12:13]
	s_cbranch_execz .LBB3_567
; %bb.566:
	ds_read2_b32 v[12:13], v25 offset1:1
	ds_read2_b32 v[16:17], v25 offset0:2 offset1:3
	ds_read2_b32 v[18:19], v25 offset0:4 offset1:5
	;; [unrolled: 1-line block ×3, first 2 shown]
	v_mbcnt_lo_u32_b32 v21, -1, 0
	s_waitcnt lgkmcnt(3)
	v_add_u32_e32 v29, v13, v12
	s_waitcnt lgkmcnt(2)
	v_add3_u32 v29, v29, v16, v17
	s_waitcnt lgkmcnt(1)
	v_add3_u32 v29, v29, v18, v19
	v_mbcnt_hi_u32_b32 v21, -1, v21
	s_waitcnt lgkmcnt(0)
	v_add3_u32 v29, v29, v30, v31
	v_and_b32_e32 v32, 15, v21
	v_cmp_ne_u32_e32 vcc, 0, v32
	v_mov_b32_dpp v33, v29 row_shr:1 row_mask:0xf bank_mask:0xf
	v_cndmask_b32_e32 v33, 0, v33, vcc
	v_add_u32_e32 v29, v33, v29
	v_cmp_lt_u32_e32 vcc, 1, v32
	s_nop 0
	v_mov_b32_dpp v33, v29 row_shr:2 row_mask:0xf bank_mask:0xf
	v_cndmask_b32_e32 v33, 0, v33, vcc
	v_add_u32_e32 v29, v29, v33
	v_cmp_lt_u32_e32 vcc, 3, v32
	s_nop 0
	;; [unrolled: 5-line block ×3, first 2 shown]
	v_mov_b32_dpp v33, v29 row_shr:8 row_mask:0xf bank_mask:0xf
	v_cndmask_b32_e32 v32, 0, v33, vcc
	v_add_u32_e32 v29, v29, v32
	v_bfe_i32 v33, v21, 4, 1
	v_cmp_lt_u32_e32 vcc, 31, v21
	v_mov_b32_dpp v32, v29 row_bcast:15 row_mask:0xf bank_mask:0xf
	v_and_b32_e32 v32, v33, v32
	v_add_u32_e32 v29, v29, v32
	v_and_b32_e32 v33, 64, v21
	s_nop 0
	v_mov_b32_dpp v32, v29 row_bcast:31 row_mask:0xf bank_mask:0xf
	v_cndmask_b32_e32 v32, 0, v32, vcc
	v_add_u32_e32 v29, v29, v32
	v_add_u32_e32 v32, -1, v21
	v_cmp_lt_i32_e32 vcc, v32, v33
	v_cndmask_b32_e32 v21, v32, v21, vcc
	v_lshlrev_b32_e32 v21, 2, v21
	ds_bpermute_b32 v21, v21, v29
	s_waitcnt lgkmcnt(0)
	v_add_u32_e32 v12, v21, v12
	v_cndmask_b32_e64 v11, v12, v11, s[10:11]
	v_add_u32_e32 v12, v11, v13
	ds_write2_b32 v25, v11, v12 offset1:1
	v_add_u32_e32 v11, v12, v16
	v_add_u32_e32 v12, v11, v17
	ds_write2_b32 v25, v11, v12 offset0:2 offset1:3
	v_add_u32_e32 v11, v12, v18
	v_add_u32_e32 v12, v11, v19
	ds_write2_b32 v25, v11, v12 offset0:4 offset1:5
	;; [unrolled: 3-line block ×3, first 2 shown]
.LBB3_567:
	s_or_b64 exec, exec, s[8:9]
	s_waitcnt lgkmcnt(0)
	s_barrier
	s_and_saveexec_b64 s[8:9], s[22:23]
	s_cbranch_execz .LBB3_569
; %bb.568:
	ds_read_b32 v10, v26
.LBB3_569:
	s_or_b64 exec, exec, s[8:9]
	v_mov_b32_e32 v11, 0
	ds_read_b32 v12, v11 offset:2104
	s_waitcnt lgkmcnt(1)
	v_add_u32_e32 v10, v10, v9
	v_cmp_lt_i32_e32 vcc, v10, v7
	ds_write_b32 v15, v10 offset:2112
	s_waitcnt lgkmcnt(0)
	v_add_u32_e32 v9, v12, v9
	s_barrier
	s_and_saveexec_b64 s[8:9], vcc
	s_cbranch_execz .LBB3_575
; %bb.570:
	v_mov_b32_e32 v12, v9
	s_and_saveexec_b64 s[18:19], s[14:15]
	s_cbranch_execz .LBB3_572
; %bb.571:
	ds_read_b32 v12, v24 offset:4
.LBB3_572:
	s_or_b64 exec, exec, s[18:19]
	s_waitcnt lgkmcnt(0)
	v_cmp_ge_i32_e32 vcc, v12, v7
	v_mov_b32_e32 v11, 0
	s_and_saveexec_b64 s[18:19], vcc
	s_cbranch_execz .LBB3_574
; %bb.573:
	s_mov_b32 s20, 0x8000
	v_sub_u32_e32 v10, v12, v10
	v_add_u32_e64 v11, s20, 0
	ds_write2_b32 v11, v10, v14 offset0:65 offset1:67
	v_mov_b32_e32 v11, 1
.LBB3_574:
	s_or_b64 exec, exec, s[18:19]
.LBB3_575:
	s_or_b64 exec, exec, s[8:9]
	v_or_b32_dpp v10, v11, v11 row_shl:1 row_mask:0xf bank_mask:0xf bound_ctrl:1
	s_bitcmp1_b32 exec_hi, 0
	s_nop 0
	v_or_b32_dpp v10, v10, v10 row_shl:2 row_mask:0xf bank_mask:0xf bound_ctrl:1
	s_nop 1
	v_or_b32_dpp v10, v10, v10 row_shl:4 row_mask:0xf bank_mask:0xf bound_ctrl:1
	;; [unrolled: 2-line block ×3, first 2 shown]
	s_nop 1
	v_mov_b32_dpp v11, v10 wave_shl:1 row_mask:0xf bank_mask:0xf bound_ctrl:1
	s_nop 1
	v_or_b32_dpp v10, v11, v10 row_mirror row_mask:0xf bank_mask:0xf bound_ctrl:1
	v_readlane_b32 s8, v10, 32
	s_cselect_b32 s8, s8, 0
	v_readlane_b32 s9, v10, 0
	s_or_b32 s20, s8, s9
	v_cndmask_b32_e64 v10, 0, 1, s[38:39]
	v_cmp_ne_u32_e64 s[8:9], 1, v10
	s_andn2_b64 vcc, exec, s[38:39]
	v_mov_b32_e32 v10, s20
	s_cbranch_vccnz .LBB3_582
; %bb.576:
	v_mbcnt_lo_u32_b32 v10, -1, 0
	v_mbcnt_hi_u32_b32 v10, -1, v10
	v_or_b32_e32 v11, v10, v28
	v_cmp_eq_u32_e32 vcc, 0, v11
	s_and_saveexec_b64 s[18:19], vcc
	s_cbranch_execz .LBB3_578
; %bb.577:
	v_mov_b32_e32 v11, 0
	v_mov_b32_e32 v12, s20
	ds_write_b32 v11, v12 offset:32768
.LBB3_578:
	s_or_b64 exec, exec, s[18:19]
	v_cmp_eq_u32_e32 vcc, 0, v10
	s_and_b64 s[24:25], s[16:17], vcc
	s_waitcnt lgkmcnt(0)
	s_barrier
	s_and_saveexec_b64 s[18:19], s[24:25]
	s_cbranch_execz .LBB3_581
; %bb.579:
	v_mbcnt_lo_u32_b32 v10, exec_lo, 0
	v_mbcnt_hi_u32_b32 v10, exec_hi, v10
	v_cmp_eq_u32_e32 vcc, 0, v10
	s_and_b64 exec, exec, vcc
	s_cbranch_execz .LBB3_581
; %bb.580:
	v_mov_b32_e32 v10, 0
	v_mov_b32_e32 v11, s20
	ds_or_b32 v10, v11 offset:32768
.LBB3_581:
	s_or_b64 exec, exec, s[18:19]
	v_mov_b32_e32 v10, 0
	s_waitcnt lgkmcnt(0)
	s_barrier
	ds_read_b32 v10, v10 offset:32768
	s_waitcnt lgkmcnt(0)
	s_barrier
.LBB3_582:
	v_cmp_eq_u32_e32 vcc, 0, v10
	s_cbranch_vccz .LBB3_636
; %bb.583:
	ds_read_b32 v10, v24 offset:2048
	s_waitcnt lgkmcnt(0)
	s_barrier
	ds_write_b32 v27, v10
	s_waitcnt lgkmcnt(0)
	s_barrier
	s_and_saveexec_b64 s[18:19], s[12:13]
	s_cbranch_execz .LBB3_585
; %bb.584:
	ds_read2_b32 v[12:13], v25 offset1:1
	ds_read2_b32 v[16:17], v25 offset0:2 offset1:3
	ds_read2_b32 v[18:19], v25 offset0:4 offset1:5
	;; [unrolled: 1-line block ×3, first 2 shown]
	v_mbcnt_lo_u32_b32 v11, -1, 0
	s_waitcnt lgkmcnt(3)
	v_add_u32_e32 v21, v13, v12
	s_waitcnt lgkmcnt(2)
	v_add3_u32 v21, v21, v16, v17
	s_waitcnt lgkmcnt(1)
	v_add3_u32 v21, v21, v18, v19
	v_mbcnt_hi_u32_b32 v11, -1, v11
	s_waitcnt lgkmcnt(0)
	v_add3_u32 v21, v21, v30, v31
	v_and_b32_e32 v29, 15, v11
	v_cmp_ne_u32_e32 vcc, 0, v29
	v_mov_b32_dpp v32, v21 row_shr:1 row_mask:0xf bank_mask:0xf
	v_cndmask_b32_e32 v32, 0, v32, vcc
	v_add_u32_e32 v21, v32, v21
	v_cmp_lt_u32_e32 vcc, 1, v29
	s_nop 0
	v_mov_b32_dpp v32, v21 row_shr:2 row_mask:0xf bank_mask:0xf
	v_cndmask_b32_e32 v32, 0, v32, vcc
	v_add_u32_e32 v21, v21, v32
	v_cmp_lt_u32_e32 vcc, 3, v29
	s_nop 0
	;; [unrolled: 5-line block ×3, first 2 shown]
	v_mov_b32_dpp v32, v21 row_shr:8 row_mask:0xf bank_mask:0xf
	v_cndmask_b32_e32 v29, 0, v32, vcc
	v_add_u32_e32 v21, v21, v29
	v_bfe_i32 v32, v11, 4, 1
	v_cmp_lt_u32_e32 vcc, 31, v11
	v_mov_b32_dpp v29, v21 row_bcast:15 row_mask:0xf bank_mask:0xf
	v_and_b32_e32 v29, v32, v29
	v_add_u32_e32 v21, v21, v29
	v_and_b32_e32 v32, 64, v11
	s_nop 0
	v_mov_b32_dpp v29, v21 row_bcast:31 row_mask:0xf bank_mask:0xf
	v_cndmask_b32_e32 v29, 0, v29, vcc
	v_add_u32_e32 v21, v21, v29
	v_add_u32_e32 v29, -1, v11
	v_cmp_lt_i32_e32 vcc, v29, v32
	v_cndmask_b32_e32 v11, v29, v11, vcc
	v_lshlrev_b32_e32 v11, 2, v11
	ds_bpermute_b32 v11, v11, v21
	s_waitcnt lgkmcnt(0)
	v_add_u32_e32 v11, v11, v12
	v_cndmask_b32_e64 v10, v11, v10, s[10:11]
	v_add_u32_e32 v11, v10, v13
	ds_write2_b32 v25, v10, v11 offset1:1
	v_add_u32_e32 v10, v11, v16
	v_add_u32_e32 v11, v10, v17
	ds_write2_b32 v25, v10, v11 offset0:2 offset1:3
	v_add_u32_e32 v10, v11, v18
	v_add_u32_e32 v11, v10, v19
	ds_write2_b32 v25, v10, v11 offset0:4 offset1:5
	;; [unrolled: 3-line block ×3, first 2 shown]
.LBB3_585:
	s_or_b64 exec, exec, s[18:19]
	v_mov_b32_e32 v10, 0
	v_mov_b32_e32 v11, 0
	s_waitcnt lgkmcnt(0)
	s_barrier
	s_and_saveexec_b64 s[18:19], s[22:23]
	s_cbranch_execz .LBB3_587
; %bb.586:
	ds_read_b32 v11, v26
.LBB3_587:
	s_or_b64 exec, exec, s[18:19]
	ds_read_b32 v12, v10 offset:2104
	s_waitcnt lgkmcnt(1)
	v_add_u32_e32 v11, v11, v9
	v_cmp_lt_i32_e32 vcc, v11, v7
	ds_write_b32 v24, v11 offset:2048
	s_waitcnt lgkmcnt(0)
	v_add_u32_e32 v9, v12, v9
	s_barrier
	s_and_saveexec_b64 s[18:19], vcc
	s_cbranch_execz .LBB3_593
; %bb.588:
	v_mov_b32_e32 v12, v9
	s_and_saveexec_b64 s[20:21], s[14:15]
	s_cbranch_execz .LBB3_590
; %bb.589:
	ds_read_b32 v12, v24 offset:2052
.LBB3_590:
	s_or_b64 exec, exec, s[20:21]
	s_waitcnt lgkmcnt(0)
	v_cmp_ge_i32_e32 vcc, v12, v7
	v_mov_b32_e32 v10, 0
	s_and_saveexec_b64 s[20:21], vcc
	s_cbranch_execz .LBB3_592
; %bb.591:
	s_mov_b32 s24, 0x8000
	v_add_u32_e32 v10, 0x200, v14
	v_sub_u32_e32 v11, v12, v11
	v_add_u32_e64 v12, s24, 0
	ds_write2_b32 v12, v11, v10 offset0:65 offset1:67
	v_mov_b32_e32 v10, 1
.LBB3_592:
	s_or_b64 exec, exec, s[20:21]
.LBB3_593:
	s_or_b64 exec, exec, s[18:19]
	v_or_b32_dpp v10, v10, v10 row_shl:1 row_mask:0xf bank_mask:0xf bound_ctrl:1
	s_bitcmp1_b32 exec_hi, 0
	s_nop 0
	v_or_b32_dpp v10, v10, v10 row_shl:2 row_mask:0xf bank_mask:0xf bound_ctrl:1
	s_nop 1
	v_or_b32_dpp v10, v10, v10 row_shl:4 row_mask:0xf bank_mask:0xf bound_ctrl:1
	;; [unrolled: 2-line block ×3, first 2 shown]
	s_nop 1
	v_mov_b32_dpp v11, v10 wave_shl:1 row_mask:0xf bank_mask:0xf bound_ctrl:1
	s_nop 1
	v_or_b32_dpp v10, v11, v10 row_mirror row_mask:0xf bank_mask:0xf bound_ctrl:1
	v_readlane_b32 s18, v10, 32
	s_cselect_b32 s18, s18, 0
	v_readlane_b32 s19, v10, 0
	s_or_b32 s20, s18, s19
	s_and_b64 vcc, exec, s[8:9]
	v_mov_b32_e32 v10, s20
	s_cbranch_vccnz .LBB3_600
; %bb.594:
	v_mbcnt_lo_u32_b32 v10, -1, 0
	v_mbcnt_hi_u32_b32 v10, -1, v10
	v_or_b32_e32 v11, v10, v28
	v_cmp_eq_u32_e32 vcc, 0, v11
	s_and_saveexec_b64 s[18:19], vcc
	s_cbranch_execz .LBB3_596
; %bb.595:
	v_mov_b32_e32 v11, 0
	v_mov_b32_e32 v12, s20
	ds_write_b32 v11, v12 offset:32768
.LBB3_596:
	s_or_b64 exec, exec, s[18:19]
	v_cmp_eq_u32_e32 vcc, 0, v10
	s_and_b64 s[24:25], s[16:17], vcc
	s_waitcnt lgkmcnt(0)
	s_barrier
	s_and_saveexec_b64 s[18:19], s[24:25]
	s_cbranch_execz .LBB3_599
; %bb.597:
	v_mbcnt_lo_u32_b32 v10, exec_lo, 0
	v_mbcnt_hi_u32_b32 v10, exec_hi, v10
	v_cmp_eq_u32_e32 vcc, 0, v10
	s_and_b64 exec, exec, vcc
	s_cbranch_execz .LBB3_599
; %bb.598:
	v_mov_b32_e32 v10, 0
	v_mov_b32_e32 v11, s20
	ds_or_b32 v10, v11 offset:32768
.LBB3_599:
	s_or_b64 exec, exec, s[18:19]
	v_mov_b32_e32 v10, 0
	s_waitcnt lgkmcnt(0)
	s_barrier
	ds_read_b32 v10, v10 offset:32768
	s_waitcnt lgkmcnt(0)
	s_barrier
.LBB3_600:
	v_cmp_ne_u32_e32 vcc, 0, v10
	s_cbranch_vccnz .LBB3_636
; %bb.601:
	ds_read_b32 v10, v24 offset:4096
	s_waitcnt lgkmcnt(0)
	s_barrier
	ds_write_b32 v27, v10
	s_waitcnt lgkmcnt(0)
	s_barrier
	s_and_saveexec_b64 s[18:19], s[12:13]
	s_cbranch_execz .LBB3_603
; %bb.602:
	ds_read2_b32 v[12:13], v25 offset1:1
	ds_read2_b32 v[16:17], v25 offset0:2 offset1:3
	ds_read2_b32 v[18:19], v25 offset0:4 offset1:5
	;; [unrolled: 1-line block ×3, first 2 shown]
	v_mbcnt_lo_u32_b32 v11, -1, 0
	s_waitcnt lgkmcnt(3)
	v_add_u32_e32 v21, v13, v12
	s_waitcnt lgkmcnt(2)
	v_add3_u32 v21, v21, v16, v17
	s_waitcnt lgkmcnt(1)
	v_add3_u32 v21, v21, v18, v19
	v_mbcnt_hi_u32_b32 v11, -1, v11
	s_waitcnt lgkmcnt(0)
	v_add3_u32 v21, v21, v30, v31
	v_and_b32_e32 v29, 15, v11
	v_cmp_ne_u32_e32 vcc, 0, v29
	v_mov_b32_dpp v32, v21 row_shr:1 row_mask:0xf bank_mask:0xf
	v_cndmask_b32_e32 v32, 0, v32, vcc
	v_add_u32_e32 v21, v32, v21
	v_cmp_lt_u32_e32 vcc, 1, v29
	s_nop 0
	v_mov_b32_dpp v32, v21 row_shr:2 row_mask:0xf bank_mask:0xf
	v_cndmask_b32_e32 v32, 0, v32, vcc
	v_add_u32_e32 v21, v21, v32
	v_cmp_lt_u32_e32 vcc, 3, v29
	s_nop 0
	;; [unrolled: 5-line block ×3, first 2 shown]
	v_mov_b32_dpp v32, v21 row_shr:8 row_mask:0xf bank_mask:0xf
	v_cndmask_b32_e32 v29, 0, v32, vcc
	v_add_u32_e32 v21, v21, v29
	v_bfe_i32 v32, v11, 4, 1
	v_cmp_lt_u32_e32 vcc, 31, v11
	v_mov_b32_dpp v29, v21 row_bcast:15 row_mask:0xf bank_mask:0xf
	v_and_b32_e32 v29, v32, v29
	v_add_u32_e32 v21, v21, v29
	v_and_b32_e32 v32, 64, v11
	s_nop 0
	v_mov_b32_dpp v29, v21 row_bcast:31 row_mask:0xf bank_mask:0xf
	v_cndmask_b32_e32 v29, 0, v29, vcc
	v_add_u32_e32 v21, v21, v29
	v_add_u32_e32 v29, -1, v11
	v_cmp_lt_i32_e32 vcc, v29, v32
	v_cndmask_b32_e32 v11, v29, v11, vcc
	v_lshlrev_b32_e32 v11, 2, v11
	ds_bpermute_b32 v11, v11, v21
	s_waitcnt lgkmcnt(0)
	v_add_u32_e32 v11, v11, v12
	v_cndmask_b32_e64 v10, v11, v10, s[10:11]
	v_add_u32_e32 v11, v10, v13
	ds_write2_b32 v25, v10, v11 offset1:1
	v_add_u32_e32 v10, v11, v16
	v_add_u32_e32 v11, v10, v17
	ds_write2_b32 v25, v10, v11 offset0:2 offset1:3
	v_add_u32_e32 v10, v11, v18
	v_add_u32_e32 v11, v10, v19
	ds_write2_b32 v25, v10, v11 offset0:4 offset1:5
	;; [unrolled: 3-line block ×3, first 2 shown]
.LBB3_603:
	s_or_b64 exec, exec, s[18:19]
	v_mov_b32_e32 v10, 0
	v_mov_b32_e32 v11, 0
	s_waitcnt lgkmcnt(0)
	s_barrier
	s_and_saveexec_b64 s[18:19], s[22:23]
	s_cbranch_execz .LBB3_605
; %bb.604:
	ds_read_b32 v11, v26
.LBB3_605:
	s_or_b64 exec, exec, s[18:19]
	ds_read_b32 v12, v10 offset:2104
	s_waitcnt lgkmcnt(1)
	v_add_u32_e32 v11, v11, v9
	v_cmp_lt_i32_e32 vcc, v11, v7
	ds_write_b32 v24, v11 offset:4096
	s_waitcnt lgkmcnt(0)
	v_add_u32_e32 v9, v12, v9
	s_barrier
	s_and_saveexec_b64 s[18:19], vcc
	s_cbranch_execz .LBB3_611
; %bb.606:
	v_mov_b32_e32 v12, v9
	s_and_saveexec_b64 s[20:21], s[14:15]
	s_cbranch_execz .LBB3_608
; %bb.607:
	ds_read_b32 v12, v24 offset:4100
.LBB3_608:
	s_or_b64 exec, exec, s[20:21]
	s_waitcnt lgkmcnt(0)
	v_cmp_ge_i32_e32 vcc, v12, v7
	v_mov_b32_e32 v10, 0
	s_and_saveexec_b64 s[20:21], vcc
	s_cbranch_execz .LBB3_610
; %bb.609:
	s_mov_b32 s24, 0x8000
	v_or_b32_e32 v10, 0x400, v14
	v_sub_u32_e32 v11, v12, v11
	v_add_u32_e64 v12, s24, 0
	ds_write2_b32 v12, v11, v10 offset0:65 offset1:67
	v_mov_b32_e32 v10, 1
.LBB3_610:
	s_or_b64 exec, exec, s[20:21]
.LBB3_611:
	s_or_b64 exec, exec, s[18:19]
	v_or_b32_dpp v10, v10, v10 row_shl:1 row_mask:0xf bank_mask:0xf bound_ctrl:1
	s_bitcmp1_b32 exec_hi, 0
	s_nop 0
	v_or_b32_dpp v10, v10, v10 row_shl:2 row_mask:0xf bank_mask:0xf bound_ctrl:1
	s_nop 1
	v_or_b32_dpp v10, v10, v10 row_shl:4 row_mask:0xf bank_mask:0xf bound_ctrl:1
	;; [unrolled: 2-line block ×3, first 2 shown]
	s_nop 1
	v_mov_b32_dpp v11, v10 wave_shl:1 row_mask:0xf bank_mask:0xf bound_ctrl:1
	s_nop 1
	v_or_b32_dpp v10, v11, v10 row_mirror row_mask:0xf bank_mask:0xf bound_ctrl:1
	v_readlane_b32 s18, v10, 32
	s_cselect_b32 s18, s18, 0
	v_readlane_b32 s19, v10, 0
	s_or_b32 s20, s18, s19
	s_and_b64 vcc, exec, s[8:9]
	v_mov_b32_e32 v10, s20
	s_cbranch_vccnz .LBB3_618
; %bb.612:
	v_mbcnt_lo_u32_b32 v10, -1, 0
	v_mbcnt_hi_u32_b32 v10, -1, v10
	v_or_b32_e32 v11, v10, v28
	v_cmp_eq_u32_e32 vcc, 0, v11
	s_and_saveexec_b64 s[18:19], vcc
	s_cbranch_execz .LBB3_614
; %bb.613:
	v_mov_b32_e32 v11, 0
	v_mov_b32_e32 v12, s20
	ds_write_b32 v11, v12 offset:32768
.LBB3_614:
	s_or_b64 exec, exec, s[18:19]
	v_cmp_eq_u32_e32 vcc, 0, v10
	s_and_b64 s[24:25], s[16:17], vcc
	s_waitcnt lgkmcnt(0)
	s_barrier
	s_and_saveexec_b64 s[18:19], s[24:25]
	s_cbranch_execz .LBB3_617
; %bb.615:
	v_mbcnt_lo_u32_b32 v10, exec_lo, 0
	v_mbcnt_hi_u32_b32 v10, exec_hi, v10
	v_cmp_eq_u32_e32 vcc, 0, v10
	s_and_b64 exec, exec, vcc
	s_cbranch_execz .LBB3_617
; %bb.616:
	v_mov_b32_e32 v10, 0
	v_mov_b32_e32 v11, s20
	ds_or_b32 v10, v11 offset:32768
.LBB3_617:
	s_or_b64 exec, exec, s[18:19]
	v_mov_b32_e32 v10, 0
	s_waitcnt lgkmcnt(0)
	s_barrier
	ds_read_b32 v10, v10 offset:32768
	s_waitcnt lgkmcnt(0)
	s_barrier
.LBB3_618:
	v_cmp_ne_u32_e32 vcc, 0, v10
	s_cbranch_vccnz .LBB3_636
; %bb.619:
	ds_read_b32 v11, v24 offset:6144
	v_mbcnt_lo_u32_b32 v10, -1, 0
	s_waitcnt lgkmcnt(0)
	s_barrier
	ds_write_b32 v27, v11
	s_waitcnt lgkmcnt(0)
	s_barrier
	s_and_saveexec_b64 s[18:19], s[12:13]
	s_cbranch_execz .LBB3_621
; %bb.620:
	ds_read2_b32 v[12:13], v25 offset1:1
	ds_read2_b32 v[16:17], v25 offset0:2 offset1:3
	ds_read2_b32 v[18:19], v25 offset0:4 offset1:5
	;; [unrolled: 1-line block ×3, first 2 shown]
	v_mbcnt_hi_u32_b32 v21, -1, v10
	s_waitcnt lgkmcnt(3)
	v_add_u32_e32 v27, v13, v12
	s_waitcnt lgkmcnt(2)
	v_add3_u32 v27, v27, v16, v17
	s_waitcnt lgkmcnt(1)
	v_add3_u32 v27, v27, v18, v19
	;; [unrolled: 2-line block ×3, first 2 shown]
	v_and_b32_e32 v29, 15, v21
	v_cmp_ne_u32_e32 vcc, 0, v29
	v_mov_b32_dpp v32, v27 row_shr:1 row_mask:0xf bank_mask:0xf
	v_cndmask_b32_e32 v32, 0, v32, vcc
	v_add_u32_e32 v27, v32, v27
	v_cmp_lt_u32_e32 vcc, 1, v29
	s_nop 0
	v_mov_b32_dpp v32, v27 row_shr:2 row_mask:0xf bank_mask:0xf
	v_cndmask_b32_e32 v32, 0, v32, vcc
	v_add_u32_e32 v27, v27, v32
	v_cmp_lt_u32_e32 vcc, 3, v29
	s_nop 0
	;; [unrolled: 5-line block ×3, first 2 shown]
	v_mov_b32_dpp v32, v27 row_shr:8 row_mask:0xf bank_mask:0xf
	v_cndmask_b32_e32 v29, 0, v32, vcc
	v_add_u32_e32 v27, v27, v29
	v_bfe_i32 v32, v21, 4, 1
	v_cmp_lt_u32_e32 vcc, 31, v21
	v_mov_b32_dpp v29, v27 row_bcast:15 row_mask:0xf bank_mask:0xf
	v_and_b32_e32 v29, v32, v29
	v_add_u32_e32 v27, v27, v29
	v_and_b32_e32 v32, 64, v21
	s_nop 0
	v_mov_b32_dpp v29, v27 row_bcast:31 row_mask:0xf bank_mask:0xf
	v_cndmask_b32_e32 v29, 0, v29, vcc
	v_add_u32_e32 v27, v27, v29
	v_add_u32_e32 v29, -1, v21
	v_cmp_lt_i32_e32 vcc, v29, v32
	v_cndmask_b32_e32 v21, v29, v21, vcc
	v_lshlrev_b32_e32 v21, 2, v21
	ds_bpermute_b32 v21, v21, v27
	s_waitcnt lgkmcnt(0)
	v_add_u32_e32 v12, v21, v12
	v_cndmask_b32_e64 v11, v12, v11, s[10:11]
	v_add_u32_e32 v12, v11, v13
	ds_write2_b32 v25, v11, v12 offset1:1
	v_add_u32_e32 v11, v12, v16
	v_add_u32_e32 v12, v11, v17
	ds_write2_b32 v25, v11, v12 offset0:2 offset1:3
	v_add_u32_e32 v11, v12, v18
	v_add_u32_e32 v12, v11, v19
	ds_write2_b32 v25, v11, v12 offset0:4 offset1:5
	;; [unrolled: 3-line block ×3, first 2 shown]
.LBB3_621:
	s_or_b64 exec, exec, s[18:19]
	v_mov_b32_e32 v11, 0
	v_mov_b32_e32 v12, 0
	s_waitcnt lgkmcnt(0)
	s_barrier
	s_and_saveexec_b64 s[10:11], s[22:23]
	s_cbranch_execz .LBB3_623
; %bb.622:
	ds_read_b32 v12, v26
.LBB3_623:
	s_or_b64 exec, exec, s[10:11]
	ds_read_b32 v13, v11 offset:2104
	s_waitcnt lgkmcnt(1)
	v_add_u32_e32 v12, v12, v9
	v_cmp_lt_i32_e32 vcc, v12, v7
	ds_write_b32 v24, v12 offset:6144
	s_waitcnt lgkmcnt(0)
	s_barrier
	s_and_saveexec_b64 s[10:11], vcc
	s_cbranch_execz .LBB3_629
; %bb.624:
	v_add_u32_e32 v9, v13, v9
	s_and_saveexec_b64 s[12:13], s[14:15]
	s_cbranch_execz .LBB3_626
; %bb.625:
	ds_read_b32 v9, v24 offset:6148
.LBB3_626:
	s_or_b64 exec, exec, s[12:13]
	s_waitcnt lgkmcnt(0)
	v_cmp_ge_i32_e32 vcc, v9, v7
	v_mov_b32_e32 v11, 0
	s_and_saveexec_b64 s[12:13], vcc
	s_cbranch_execz .LBB3_628
; %bb.627:
	s_mov_b32 s14, 0x8000
	v_add_u32_e32 v11, 0x600, v14
	v_sub_u32_e32 v9, v9, v12
	v_add_u32_e64 v12, s14, 0
	ds_write2_b32 v12, v9, v11 offset0:65 offset1:67
	v_mov_b32_e32 v11, 1
.LBB3_628:
	s_or_b64 exec, exec, s[12:13]
.LBB3_629:
	s_or_b64 exec, exec, s[10:11]
	v_or_b32_dpp v9, v11, v11 row_shl:1 row_mask:0xf bank_mask:0xf bound_ctrl:1
	s_and_b64 vcc, exec, s[8:9]
	s_nop 0
	v_or_b32_dpp v9, v9, v9 row_shl:2 row_mask:0xf bank_mask:0xf bound_ctrl:1
	s_nop 1
	v_or_b32_dpp v9, v9, v9 row_shl:4 row_mask:0xf bank_mask:0xf bound_ctrl:1
	;; [unrolled: 2-line block ×3, first 2 shown]
	s_nop 1
	v_mov_b32_dpp v11, v9 wave_shl:1 row_mask:0xf bank_mask:0xf bound_ctrl:1
	s_nop 1
	v_or_b32_dpp v9, v11, v9 row_mirror row_mask:0xf bank_mask:0xf bound_ctrl:1
	v_readlane_b32 s10, v9, 32
	v_readlane_b32 s8, v9, 0
	s_cbranch_vccnz .LBB3_636
; %bb.630:
	s_bitcmp1_b32 exec_hi, 0
	v_mbcnt_hi_u32_b32 v9, -1, v10
	s_cselect_b32 s9, s10, 0
	v_or_b32_e32 v10, v9, v28
	s_or_b32 s10, s9, s8
	v_cmp_eq_u32_e32 vcc, 0, v10
	s_and_saveexec_b64 s[8:9], vcc
	s_cbranch_execz .LBB3_632
; %bb.631:
	v_mov_b32_e32 v10, 0
	v_mov_b32_e32 v11, s10
	ds_write_b32 v10, v11 offset:32768
.LBB3_632:
	s_or_b64 exec, exec, s[8:9]
	v_cmp_eq_u32_e32 vcc, 0, v9
	s_and_b64 s[12:13], s[16:17], vcc
	s_waitcnt lgkmcnt(0)
	s_barrier
	s_and_saveexec_b64 s[8:9], s[12:13]
	s_cbranch_execz .LBB3_635
; %bb.633:
	v_mbcnt_lo_u32_b32 v9, exec_lo, 0
	v_mbcnt_hi_u32_b32 v9, exec_hi, v9
	v_cmp_eq_u32_e32 vcc, 0, v9
	s_and_b64 exec, exec, vcc
	s_cbranch_execz .LBB3_635
; %bb.634:
	v_mov_b32_e32 v9, 0
	v_mov_b32_e32 v10, s10
	ds_or_b32 v9, v10 offset:32768
.LBB3_635:
	s_or_b64 exec, exec, s[8:9]
	v_mov_b32_e32 v9, 0
	s_waitcnt lgkmcnt(0)
	s_barrier
	ds_read_b32 v9, v9 offset:32768
	s_waitcnt lgkmcnt(0)
	s_barrier
.LBB3_636:
	v_mov_b32_e32 v9, 0
	s_waitcnt lgkmcnt(0)
	s_barrier
	ds_read_b32 v18, v9 offset:33036
	s_and_saveexec_b64 s[8:9], s[6:7]
	s_xor_b64 s[6:7], exec, s[8:9]
	s_cbranch_execz .LBB3_651
; %bb.637:
	v_cmp_lt_i32_e32 vcc, v23, v8
	s_and_saveexec_b64 s[8:9], vcc
	s_cbranch_execz .LBB3_650
; %bb.638:
	s_ashr_i32 s35, s34, 31
	s_lshl_b64 s[10:11], s[34:35], 2
	s_getpc_b64 s[12:13]
	s_add_u32 s12, s12, llvm.amdgcn.dynlds.offset.table@rel32@lo+4
	s_addc_u32 s13, s13, llvm.amdgcn.dynlds.offset.table@rel32@hi+12
	s_add_u32 s10, s10, s12
	s_waitcnt lgkmcnt(0)
	v_lshlrev_b32_e32 v3, 2, v18
	s_addc_u32 s11, s11, s13
	v_mul_lo_u32 v10, v6, v23
	v_lshlrev_b32_e32 v6, 9, v6
	s_mov_b64 s[12:13], 0
	s_movk_i32 s22, 0x400
	v_mov_b32_e32 v9, 0
	s_branch .LBB3_640
.LBB3_639:                              ;   in Loop: Header=BB3_640 Depth=1
	s_or_b64 exec, exec, s[14:15]
	v_add_u32_e32 v23, 0x200, v23
	v_cmp_ge_i32_e32 vcc, v23, v8
	s_or_b64 s[12:13], vcc, s[12:13]
	v_add_u32_e32 v10, v10, v6
	s_andn2_b64 exec, exec, s[12:13]
	s_cbranch_execz .LBB3_650
.LBB3_640:                              ; =>This Inner Loop Header: Depth=1
	v_ashrrev_i32_e32 v11, 31, v10
	v_lshlrev_b64 v[12:13], 2, v[10:11]
	v_add_co_u32_e32 v12, vcc, v0, v12
	v_addc_co_u32_e32 v13, vcc, v1, v13, vcc
	flat_load_dword v11, v[12:13]
	s_waitcnt vmcnt(0) lgkmcnt(0)
	v_not_b32_e32 v12, v11
	v_and_b32_e32 v13, 0x7ffffc00, v12
	v_cmp_gt_i32_e32 vcc, 0, v11
	v_cndmask_b32_e32 v13, v13, v11, vcc
	v_xor_b32_e32 v13, v13, v20
	v_cmp_gt_u32_e32 vcc, s22, v13
	s_and_saveexec_b64 s[14:15], vcc
	s_cbranch_execz .LBB3_639
; %bb.641:                              ;   in Loop: Header=BB3_640 Depth=1
	v_ashrrev_i32_e32 v12, 31, v12
	v_xor_b32_e32 v11, v11, v12
	v_and_b32_e32 v11, 0x3ff, v11
	v_cmp_lt_u32_e32 vcc, v11, v18
	s_and_saveexec_b64 s[16:17], vcc
	s_cbranch_execz .LBB3_645
; %bb.642:                              ;   in Loop: Header=BB3_640 Depth=1
	s_mov_b64 s[20:21], exec
	v_mbcnt_lo_u32_b32 v12, s20, 0
	v_mbcnt_hi_u32_b32 v12, s21, v12
	v_cmp_eq_u32_e32 vcc, 0, v12
                                        ; implicit-def: $vgpr13
	s_and_saveexec_b64 s[18:19], vcc
	s_cbranch_execz .LBB3_644
; %bb.643:                              ;   in Loop: Header=BB3_640 Depth=1
	s_bcnt1_i32_b64 s20, s[20:21]
	v_mov_b32_e32 v13, s20
	ds_add_rtn_u32 v13, v9, v13 offset:33032
.LBB3_644:                              ;   in Loop: Header=BB3_640 Depth=1
	s_or_b64 exec, exec, s[18:19]
	s_load_dword s18, s[10:11], 0x0
	s_waitcnt lgkmcnt(0)
	v_readfirstlane_b32 s19, v13
	v_add_u32_e32 v12, s19, v12
	v_lshl_add_u32 v12, v12, 2, s18
	ds_write_b32 v12, v23
.LBB3_645:                              ;   in Loop: Header=BB3_640 Depth=1
	s_or_b64 exec, exec, s[16:17]
	v_cmp_eq_u32_e32 vcc, v11, v18
	s_and_b64 exec, exec, vcc
	s_cbranch_execz .LBB3_639
; %bb.646:                              ;   in Loop: Header=BB3_640 Depth=1
	s_mov_b64 s[18:19], exec
	v_mbcnt_lo_u32_b32 v11, s18, 0
	v_mbcnt_hi_u32_b32 v11, s19, v11
	v_cmp_eq_u32_e32 vcc, 0, v11
                                        ; implicit-def: $vgpr12
	s_and_saveexec_b64 s[16:17], vcc
	s_cbranch_execz .LBB3_648
; %bb.647:                              ;   in Loop: Header=BB3_640 Depth=1
	s_bcnt1_i32_b64 s18, s[18:19]
	v_mov_b32_e32 v12, s18
	ds_add_rtn_u32 v12, v3, v12 offset:2112
.LBB3_648:                              ;   in Loop: Header=BB3_640 Depth=1
	s_or_b64 exec, exec, s[16:17]
	s_waitcnt lgkmcnt(0)
	v_readfirstlane_b32 s16, v12
	v_add_u32_e32 v11, s16, v11
	v_cmp_lt_i32_e32 vcc, v11, v7
	s_and_b64 exec, exec, vcc
	s_cbranch_execz .LBB3_639
; %bb.649:                              ;   in Loop: Header=BB3_640 Depth=1
	s_load_dword s16, s[10:11], 0x0
	s_waitcnt lgkmcnt(0)
	v_lshl_add_u32 v11, v11, 2, s16
	ds_write_b32 v11, v23
	s_branch .LBB3_639
.LBB3_650:
	s_or_b64 exec, exec, s[8:9]
                                        ; implicit-def: $vgpr22
                                        ; implicit-def: $vgpr20
                                        ; implicit-def: $vgpr18
                                        ; implicit-def: $vgpr0
                                        ; implicit-def: $vgpr1
.LBB3_651:
	s_andn2_saveexec_b64 s[8:9], s[6:7]
	s_cbranch_execz .LBB3_718
; %bb.652:
	v_lshlrev_b64 v[8:9], 2, v[2:3]
	v_add_co_u32_e32 v3, vcc, v0, v8
	v_and_b32_e32 v16, 15, v3
	v_mov_b32_e32 v17, 0
	v_addc_co_u32_e32 v6, vcc, v1, v9, vcc
	v_sub_u32_e32 v10, 16, v16
	v_lshrrev_b32_e32 v10, 2, v10
	v_cmp_ne_u64_e32 vcc, 0, v[16:17]
	v_cndmask_b32_e32 v10, 0, v10, vcc
	v_min_i32_e32 v12, v10, v22
	v_sub_u32_e32 v10, v22, v12
	v_ashrrev_i32_e32 v11, 31, v10
	v_lshrrev_b32_e32 v11, 30, v11
	v_add_u32_e32 v10, v10, v11
	v_ashrrev_i32_e32 v16, 2, v10
	s_mov_b64 s[10:11], 0
	v_ashrrev_i32_e32 v13, 31, v12
	v_cmp_gt_i32_e32 vcc, v16, v14
	s_and_saveexec_b64 s[12:13], vcc
	s_cbranch_execz .LBB3_695
; %bb.653:
	v_lshlrev_b32_e32 v23, 4, v14
	v_lshlrev_b64 v[10:11], 2, v[12:13]
	v_add_co_u32_e32 v10, vcc, v23, v10
	s_ashr_i32 s35, s34, 31
	v_addc_co_u32_e32 v11, vcc, 0, v11, vcc
	s_lshl_b64 s[6:7], s[34:35], 2
	v_add_co_u32_e32 v8, vcc, v10, v8
	s_getpc_b64 s[14:15]
	s_add_u32 s14, s14, llvm.amdgcn.dynlds.offset.table@rel32@lo+4
	s_addc_u32 s15, s15, llvm.amdgcn.dynlds.offset.table@rel32@hi+12
	v_addc_co_u32_e32 v9, vcc, v11, v9, vcc
	s_add_u32 s14, s6, s14
	v_add_co_u32_e32 v0, vcc, v0, v8
	s_waitcnt lgkmcnt(0)
	v_lshlrev_b32_e32 v19, 2, v18
	s_addc_u32 s15, s7, s15
	v_lshl_add_u32 v21, v14, 2, v12
	v_addc_co_u32_e32 v1, vcc, v1, v9, vcc
	s_movk_i32 s22, 0x400
	v_mov_b32_e32 v13, v14
	s_branch .LBB3_655
.LBB3_654:                              ;   in Loop: Header=BB3_655 Depth=1
	s_or_b64 exec, exec, s[6:7]
	v_add_u32_e32 v13, 0x200, v13
	v_add_co_u32_e32 v0, vcc, 0x2000, v0
	v_cmp_ge_i32_e64 s[6:7], v13, v16
	v_add_u32_e32 v21, 0x800, v21
	s_or_b64 s[10:11], s[6:7], s[10:11]
	v_addc_co_u32_e32 v1, vcc, 0, v1, vcc
	s_andn2_b64 exec, exec, s[10:11]
	s_cbranch_execz .LBB3_695
.LBB3_655:                              ; =>This Inner Loop Header: Depth=1
	flat_load_dwordx4 v[8:11], v[0:1]
	s_waitcnt vmcnt(0) lgkmcnt(0)
	v_not_b32_e32 v23, v8
	v_and_b32_e32 v24, 0x7ffffc00, v23
	v_cmp_gt_i32_e32 vcc, 0, v8
	v_cndmask_b32_e32 v24, v24, v8, vcc
	v_xor_b32_e32 v24, v24, v20
	v_cmp_gt_u32_e32 vcc, s22, v24
	s_and_saveexec_b64 s[6:7], vcc
	s_cbranch_execz .LBB3_665
; %bb.656:                              ;   in Loop: Header=BB3_655 Depth=1
	v_ashrrev_i32_e32 v23, 31, v23
	v_xor_b32_e32 v8, v8, v23
	v_and_b32_e32 v8, 0x3ff, v8
	v_cmp_lt_u32_e32 vcc, v8, v18
	s_and_saveexec_b64 s[16:17], vcc
	s_cbranch_execz .LBB3_660
; %bb.657:                              ;   in Loop: Header=BB3_655 Depth=1
	s_mov_b64 s[20:21], exec
	v_mbcnt_lo_u32_b32 v23, s20, 0
	v_mbcnt_hi_u32_b32 v23, s21, v23
	v_cmp_eq_u32_e32 vcc, 0, v23
                                        ; implicit-def: $vgpr24
	s_and_saveexec_b64 s[18:19], vcc
	s_cbranch_execz .LBB3_659
; %bb.658:                              ;   in Loop: Header=BB3_655 Depth=1
	s_bcnt1_i32_b64 s20, s[20:21]
	v_mov_b32_e32 v24, s20
	ds_add_rtn_u32 v24, v17, v24 offset:33032
.LBB3_659:                              ;   in Loop: Header=BB3_655 Depth=1
	s_or_b64 exec, exec, s[18:19]
	s_load_dword s18, s[14:15], 0x0
	s_waitcnt lgkmcnt(0)
	v_readfirstlane_b32 s19, v24
	v_add_u32_e32 v23, s19, v23
	v_lshl_add_u32 v23, v23, 2, s18
	ds_write_b32 v23, v21
.LBB3_660:                              ;   in Loop: Header=BB3_655 Depth=1
	s_or_b64 exec, exec, s[16:17]
	v_cmp_eq_u32_e32 vcc, v8, v18
	s_and_b64 exec, exec, vcc
	s_cbranch_execz .LBB3_665
; %bb.661:                              ;   in Loop: Header=BB3_655 Depth=1
	s_mov_b64 s[18:19], exec
	v_mbcnt_lo_u32_b32 v8, s18, 0
	v_mbcnt_hi_u32_b32 v8, s19, v8
	v_cmp_eq_u32_e32 vcc, 0, v8
                                        ; implicit-def: $vgpr23
	s_and_saveexec_b64 s[16:17], vcc
	s_cbranch_execz .LBB3_663
; %bb.662:                              ;   in Loop: Header=BB3_655 Depth=1
	s_bcnt1_i32_b64 s18, s[18:19]
	v_mov_b32_e32 v23, s18
	ds_add_rtn_u32 v23, v19, v23 offset:2112
.LBB3_663:                              ;   in Loop: Header=BB3_655 Depth=1
	s_or_b64 exec, exec, s[16:17]
	s_waitcnt lgkmcnt(0)
	v_readfirstlane_b32 s16, v23
	v_add_u32_e32 v8, s16, v8
	v_cmp_lt_i32_e32 vcc, v8, v7
	s_and_b64 exec, exec, vcc
	s_cbranch_execz .LBB3_665
; %bb.664:                              ;   in Loop: Header=BB3_655 Depth=1
	s_load_dword s16, s[14:15], 0x0
	s_waitcnt lgkmcnt(0)
	v_lshl_add_u32 v8, v8, 2, s16
	ds_write_b32 v8, v21
.LBB3_665:                              ;   in Loop: Header=BB3_655 Depth=1
	s_or_b64 exec, exec, s[6:7]
	v_not_b32_e32 v23, v9
	v_and_b32_e32 v8, 0x7ffffc00, v23
	v_cmp_gt_i32_e32 vcc, 0, v9
	v_cndmask_b32_e32 v8, v8, v9, vcc
	v_xor_b32_e32 v8, v8, v20
	v_cmp_gt_u32_e32 vcc, s22, v8
	s_and_saveexec_b64 s[6:7], vcc
	s_cbranch_execz .LBB3_675
; %bb.666:                              ;   in Loop: Header=BB3_655 Depth=1
	v_ashrrev_i32_e32 v23, 31, v23
	v_xor_b32_e32 v9, v9, v23
	v_and_b32_e32 v9, 0x3ff, v9
	v_add_u32_e32 v8, 1, v21
	v_cmp_lt_u32_e32 vcc, v9, v18
	s_and_saveexec_b64 s[16:17], vcc
	s_cbranch_execz .LBB3_670
; %bb.667:                              ;   in Loop: Header=BB3_655 Depth=1
	s_mov_b64 s[20:21], exec
	v_mbcnt_lo_u32_b32 v23, s20, 0
	v_mbcnt_hi_u32_b32 v23, s21, v23
	v_cmp_eq_u32_e32 vcc, 0, v23
                                        ; implicit-def: $vgpr24
	s_and_saveexec_b64 s[18:19], vcc
	s_cbranch_execz .LBB3_669
; %bb.668:                              ;   in Loop: Header=BB3_655 Depth=1
	s_bcnt1_i32_b64 s20, s[20:21]
	v_mov_b32_e32 v24, s20
	ds_add_rtn_u32 v24, v17, v24 offset:33032
.LBB3_669:                              ;   in Loop: Header=BB3_655 Depth=1
	s_or_b64 exec, exec, s[18:19]
	s_load_dword s18, s[14:15], 0x0
	s_waitcnt lgkmcnt(0)
	v_readfirstlane_b32 s19, v24
	v_add_u32_e32 v23, s19, v23
	v_lshl_add_u32 v23, v23, 2, s18
	ds_write_b32 v23, v8
.LBB3_670:                              ;   in Loop: Header=BB3_655 Depth=1
	s_or_b64 exec, exec, s[16:17]
	v_cmp_eq_u32_e32 vcc, v9, v18
	s_and_b64 exec, exec, vcc
	s_cbranch_execz .LBB3_675
; %bb.671:                              ;   in Loop: Header=BB3_655 Depth=1
	s_mov_b64 s[18:19], exec
	v_mbcnt_lo_u32_b32 v9, s18, 0
	v_mbcnt_hi_u32_b32 v9, s19, v9
	v_cmp_eq_u32_e32 vcc, 0, v9
                                        ; implicit-def: $vgpr23
	s_and_saveexec_b64 s[16:17], vcc
	s_cbranch_execz .LBB3_673
; %bb.672:                              ;   in Loop: Header=BB3_655 Depth=1
	s_bcnt1_i32_b64 s18, s[18:19]
	v_mov_b32_e32 v23, s18
	ds_add_rtn_u32 v23, v19, v23 offset:2112
.LBB3_673:                              ;   in Loop: Header=BB3_655 Depth=1
	s_or_b64 exec, exec, s[16:17]
	s_waitcnt lgkmcnt(0)
	v_readfirstlane_b32 s16, v23
	v_add_u32_e32 v9, s16, v9
	v_cmp_lt_i32_e32 vcc, v9, v7
	s_and_b64 exec, exec, vcc
	s_cbranch_execz .LBB3_675
; %bb.674:                              ;   in Loop: Header=BB3_655 Depth=1
	s_load_dword s16, s[14:15], 0x0
	s_waitcnt lgkmcnt(0)
	v_lshl_add_u32 v9, v9, 2, s16
	ds_write_b32 v9, v8
.LBB3_675:                              ;   in Loop: Header=BB3_655 Depth=1
	s_or_b64 exec, exec, s[6:7]
	v_not_b32_e32 v9, v10
	v_and_b32_e32 v8, 0x7ffffc00, v9
	v_cmp_gt_i32_e32 vcc, 0, v10
	v_cndmask_b32_e32 v8, v8, v10, vcc
	v_xor_b32_e32 v8, v8, v20
	v_cmp_gt_u32_e32 vcc, s22, v8
	s_and_saveexec_b64 s[6:7], vcc
	s_cbranch_execz .LBB3_685
; %bb.676:                              ;   in Loop: Header=BB3_655 Depth=1
	v_ashrrev_i32_e32 v9, 31, v9
	v_xor_b32_e32 v9, v10, v9
	v_and_b32_e32 v9, 0x3ff, v9
	v_add_u32_e32 v8, 2, v21
	v_cmp_lt_u32_e32 vcc, v9, v18
	s_and_saveexec_b64 s[16:17], vcc
	s_cbranch_execz .LBB3_680
; %bb.677:                              ;   in Loop: Header=BB3_655 Depth=1
	s_mov_b64 s[20:21], exec
	v_mbcnt_lo_u32_b32 v10, s20, 0
	v_mbcnt_hi_u32_b32 v10, s21, v10
	v_cmp_eq_u32_e32 vcc, 0, v10
                                        ; implicit-def: $vgpr23
	s_and_saveexec_b64 s[18:19], vcc
	s_cbranch_execz .LBB3_679
; %bb.678:                              ;   in Loop: Header=BB3_655 Depth=1
	s_bcnt1_i32_b64 s20, s[20:21]
	v_mov_b32_e32 v23, s20
	ds_add_rtn_u32 v23, v17, v23 offset:33032
.LBB3_679:                              ;   in Loop: Header=BB3_655 Depth=1
	s_or_b64 exec, exec, s[18:19]
	s_load_dword s18, s[14:15], 0x0
	s_waitcnt lgkmcnt(0)
	v_readfirstlane_b32 s19, v23
	v_add_u32_e32 v10, s19, v10
	v_lshl_add_u32 v10, v10, 2, s18
	ds_write_b32 v10, v8
.LBB3_680:                              ;   in Loop: Header=BB3_655 Depth=1
	s_or_b64 exec, exec, s[16:17]
	v_cmp_eq_u32_e32 vcc, v9, v18
	s_and_b64 exec, exec, vcc
	s_cbranch_execz .LBB3_685
; %bb.681:                              ;   in Loop: Header=BB3_655 Depth=1
	s_mov_b64 s[18:19], exec
	v_mbcnt_lo_u32_b32 v9, s18, 0
	v_mbcnt_hi_u32_b32 v9, s19, v9
	v_cmp_eq_u32_e32 vcc, 0, v9
                                        ; implicit-def: $vgpr10
	s_and_saveexec_b64 s[16:17], vcc
	s_cbranch_execz .LBB3_683
; %bb.682:                              ;   in Loop: Header=BB3_655 Depth=1
	s_bcnt1_i32_b64 s18, s[18:19]
	v_mov_b32_e32 v10, s18
	ds_add_rtn_u32 v10, v19, v10 offset:2112
.LBB3_683:                              ;   in Loop: Header=BB3_655 Depth=1
	s_or_b64 exec, exec, s[16:17]
	s_waitcnt lgkmcnt(0)
	v_readfirstlane_b32 s16, v10
	v_add_u32_e32 v9, s16, v9
	v_cmp_lt_i32_e32 vcc, v9, v7
	s_and_b64 exec, exec, vcc
	s_cbranch_execz .LBB3_685
; %bb.684:                              ;   in Loop: Header=BB3_655 Depth=1
	s_load_dword s16, s[14:15], 0x0
	s_waitcnt lgkmcnt(0)
	v_lshl_add_u32 v9, v9, 2, s16
	ds_write_b32 v9, v8
.LBB3_685:                              ;   in Loop: Header=BB3_655 Depth=1
	s_or_b64 exec, exec, s[6:7]
	v_not_b32_e32 v9, v11
	v_and_b32_e32 v8, 0x7ffffc00, v9
	v_cmp_gt_i32_e32 vcc, 0, v11
	v_cndmask_b32_e32 v8, v8, v11, vcc
	v_xor_b32_e32 v8, v8, v20
	v_cmp_gt_u32_e32 vcc, s22, v8
	s_and_saveexec_b64 s[6:7], vcc
	s_cbranch_execz .LBB3_654
; %bb.686:                              ;   in Loop: Header=BB3_655 Depth=1
	v_ashrrev_i32_e32 v9, 31, v9
	v_xor_b32_e32 v9, v11, v9
	v_and_b32_e32 v9, 0x3ff, v9
	v_add_u32_e32 v8, 3, v21
	v_cmp_lt_u32_e32 vcc, v9, v18
	s_and_saveexec_b64 s[16:17], vcc
	s_cbranch_execz .LBB3_690
; %bb.687:                              ;   in Loop: Header=BB3_655 Depth=1
	s_mov_b64 s[20:21], exec
	v_mbcnt_lo_u32_b32 v10, s20, 0
	v_mbcnt_hi_u32_b32 v10, s21, v10
	v_cmp_eq_u32_e32 vcc, 0, v10
                                        ; implicit-def: $vgpr11
	s_and_saveexec_b64 s[18:19], vcc
	s_cbranch_execz .LBB3_689
; %bb.688:                              ;   in Loop: Header=BB3_655 Depth=1
	s_bcnt1_i32_b64 s20, s[20:21]
	v_mov_b32_e32 v11, s20
	ds_add_rtn_u32 v11, v17, v11 offset:33032
.LBB3_689:                              ;   in Loop: Header=BB3_655 Depth=1
	s_or_b64 exec, exec, s[18:19]
	s_load_dword s18, s[14:15], 0x0
	s_waitcnt lgkmcnt(0)
	v_readfirstlane_b32 s19, v11
	v_add_u32_e32 v10, s19, v10
	v_lshl_add_u32 v10, v10, 2, s18
	ds_write_b32 v10, v8
.LBB3_690:                              ;   in Loop: Header=BB3_655 Depth=1
	s_or_b64 exec, exec, s[16:17]
	v_cmp_eq_u32_e32 vcc, v9, v18
	s_and_b64 exec, exec, vcc
	s_cbranch_execz .LBB3_654
; %bb.691:                              ;   in Loop: Header=BB3_655 Depth=1
	s_mov_b64 s[18:19], exec
	v_mbcnt_lo_u32_b32 v9, s18, 0
	v_mbcnt_hi_u32_b32 v9, s19, v9
	v_cmp_eq_u32_e32 vcc, 0, v9
                                        ; implicit-def: $vgpr10
	s_and_saveexec_b64 s[16:17], vcc
	s_cbranch_execz .LBB3_693
; %bb.692:                              ;   in Loop: Header=BB3_655 Depth=1
	s_bcnt1_i32_b64 s18, s[18:19]
	v_mov_b32_e32 v10, s18
	ds_add_rtn_u32 v10, v19, v10 offset:2112
.LBB3_693:                              ;   in Loop: Header=BB3_655 Depth=1
	s_or_b64 exec, exec, s[16:17]
	s_waitcnt lgkmcnt(0)
	v_readfirstlane_b32 s16, v10
	v_add_u32_e32 v9, s16, v9
	v_cmp_lt_i32_e32 vcc, v9, v7
	s_and_b64 exec, exec, vcc
	s_cbranch_execz .LBB3_654
; %bb.694:                              ;   in Loop: Header=BB3_655 Depth=1
	s_load_dword s16, s[14:15], 0x0
	s_waitcnt lgkmcnt(0)
	v_lshl_add_u32 v9, v9, 2, s16
	ds_write_b32 v9, v8
	s_branch .LBB3_654
.LBB3_695:
	s_or_b64 exec, exec, s[12:13]
	v_cmp_gt_u32_e32 vcc, v12, v14
	s_and_saveexec_b64 s[6:7], vcc
	s_cbranch_execz .LBB3_706
; %bb.696:
	v_add_co_u32_e32 v0, vcc, v3, v15
	v_addc_co_u32_e32 v1, vcc, 0, v6, vcc
	flat_load_dword v0, v[0:1]
	s_movk_i32 s10, 0x400
	s_waitcnt vmcnt(0) lgkmcnt(0)
	v_not_b32_e32 v1, v0
	v_and_b32_e32 v8, 0x7ffffc00, v1
	v_cmp_gt_i32_e32 vcc, 0, v0
	v_cndmask_b32_e32 v8, v8, v0, vcc
	v_xor_b32_e32 v8, v8, v20
	v_cmp_gt_u32_e32 vcc, s10, v8
	s_and_b64 exec, exec, vcc
	s_cbranch_execz .LBB3_706
; %bb.697:
	v_ashrrev_i32_e32 v1, 31, v1
	v_xor_b32_e32 v0, v0, v1
	v_and_b32_e32 v0, 0x3ff, v0
	v_cmp_lt_u32_e32 vcc, v0, v18
	s_and_saveexec_b64 s[10:11], vcc
	s_cbranch_execz .LBB3_701
; %bb.698:
	s_mov_b64 s[14:15], exec
	v_mbcnt_lo_u32_b32 v1, s14, 0
	v_mbcnt_hi_u32_b32 v1, s15, v1
	v_cmp_eq_u32_e32 vcc, 0, v1
                                        ; implicit-def: $vgpr8
	s_and_saveexec_b64 s[12:13], vcc
	s_cbranch_execz .LBB3_700
; %bb.699:
	s_bcnt1_i32_b64 s14, s[14:15]
	v_mov_b32_e32 v8, 0
	v_mov_b32_e32 v9, s14
	ds_add_rtn_u32 v8, v8, v9 offset:33032
.LBB3_700:
	s_or_b64 exec, exec, s[12:13]
	s_ashr_i32 s35, s34, 31
	s_lshl_b64 s[12:13], s[34:35], 2
	s_getpc_b64 s[14:15]
	s_add_u32 s14, s14, llvm.amdgcn.dynlds.offset.table@rel32@lo+4
	s_addc_u32 s15, s15, llvm.amdgcn.dynlds.offset.table@rel32@hi+12
	s_add_u32 s12, s12, s14
	s_addc_u32 s13, s13, s15
	s_load_dword s12, s[12:13], 0x0
	s_waitcnt lgkmcnt(0)
	v_readfirstlane_b32 s13, v8
	v_add_u32_e32 v1, s13, v1
	v_lshl_add_u32 v1, v1, 2, s12
	ds_write_b32 v1, v14
.LBB3_701:
	s_or_b64 exec, exec, s[10:11]
	v_cmp_eq_u32_e32 vcc, v0, v18
	s_and_b64 exec, exec, vcc
	s_cbranch_execz .LBB3_706
; %bb.702:
	s_mov_b64 s[12:13], exec
	v_mbcnt_lo_u32_b32 v0, s12, 0
	v_mbcnt_hi_u32_b32 v0, s13, v0
	v_cmp_eq_u32_e32 vcc, 0, v0
                                        ; implicit-def: $vgpr1
	s_and_saveexec_b64 s[10:11], vcc
	s_cbranch_execz .LBB3_704
; %bb.703:
	s_bcnt1_i32_b64 s12, s[12:13]
	v_lshlrev_b32_e32 v1, 2, v18
	v_mov_b32_e32 v8, s12
	ds_add_rtn_u32 v1, v1, v8 offset:2112
.LBB3_704:
	s_or_b64 exec, exec, s[10:11]
	s_waitcnt lgkmcnt(0)
	v_readfirstlane_b32 s10, v1
	v_add_u32_e32 v0, s10, v0
	v_cmp_lt_i32_e32 vcc, v0, v7
	s_and_b64 exec, exec, vcc
	s_cbranch_execz .LBB3_706
; %bb.705:
	s_ashr_i32 s35, s34, 31
	s_lshl_b64 s[10:11], s[34:35], 2
	s_getpc_b64 s[12:13]
	s_add_u32 s12, s12, llvm.amdgcn.dynlds.offset.table@rel32@lo+4
	s_addc_u32 s13, s13, llvm.amdgcn.dynlds.offset.table@rel32@hi+12
	s_add_u32 s10, s10, s12
	s_addc_u32 s11, s11, s13
	s_load_dword s10, s[10:11], 0x0
	s_waitcnt lgkmcnt(0)
	v_lshl_add_u32 v0, v0, 2, s10
	ds_write_b32 v0, v14
.LBB3_706:
	s_or_b64 exec, exec, s[6:7]
	v_lshlrev_b32_e32 v0, 2, v16
	v_add3_u32 v0, v12, v14, v0
	v_cmp_lt_i32_e32 vcc, v0, v22
	s_and_saveexec_b64 s[6:7], vcc
	s_cbranch_execz .LBB3_717
; %bb.707:
	v_ashrrev_i32_e32 v1, 31, v0
	v_lshlrev_b64 v[8:9], 2, v[0:1]
	v_add_co_u32_e32 v8, vcc, v3, v8
	v_addc_co_u32_e32 v9, vcc, v6, v9, vcc
	flat_load_dword v1, v[8:9]
	s_movk_i32 s10, 0x400
	s_waitcnt vmcnt(0) lgkmcnt(0)
	v_not_b32_e32 v3, v1
	v_and_b32_e32 v6, 0x7ffffc00, v3
	v_cmp_gt_i32_e32 vcc, 0, v1
	v_cndmask_b32_e32 v6, v6, v1, vcc
	v_xor_b32_e32 v6, v6, v20
	v_cmp_gt_u32_e32 vcc, s10, v6
	s_and_b64 exec, exec, vcc
	s_cbranch_execz .LBB3_717
; %bb.708:
	v_ashrrev_i32_e32 v3, 31, v3
	v_xor_b32_e32 v1, v1, v3
	v_and_b32_e32 v1, 0x3ff, v1
	v_cmp_lt_u32_e32 vcc, v1, v18
	s_and_saveexec_b64 s[10:11], vcc
	s_cbranch_execz .LBB3_712
; %bb.709:
	s_mov_b64 s[14:15], exec
	v_mbcnt_lo_u32_b32 v3, s14, 0
	v_mbcnt_hi_u32_b32 v3, s15, v3
	v_cmp_eq_u32_e32 vcc, 0, v3
                                        ; implicit-def: $vgpr6
	s_and_saveexec_b64 s[12:13], vcc
	s_cbranch_execz .LBB3_711
; %bb.710:
	s_bcnt1_i32_b64 s14, s[14:15]
	v_mov_b32_e32 v6, 0
	v_mov_b32_e32 v8, s14
	ds_add_rtn_u32 v6, v6, v8 offset:33032
.LBB3_711:
	s_or_b64 exec, exec, s[12:13]
	s_ashr_i32 s35, s34, 31
	s_lshl_b64 s[12:13], s[34:35], 2
	s_getpc_b64 s[14:15]
	s_add_u32 s14, s14, llvm.amdgcn.dynlds.offset.table@rel32@lo+4
	s_addc_u32 s15, s15, llvm.amdgcn.dynlds.offset.table@rel32@hi+12
	s_add_u32 s12, s12, s14
	s_addc_u32 s13, s13, s15
	s_load_dword s12, s[12:13], 0x0
	s_waitcnt lgkmcnt(0)
	v_readfirstlane_b32 s13, v6
	v_add_u32_e32 v3, s13, v3
	v_lshl_add_u32 v3, v3, 2, s12
	ds_write_b32 v3, v0
.LBB3_712:
	s_or_b64 exec, exec, s[10:11]
	v_cmp_eq_u32_e32 vcc, v1, v18
	s_and_b64 exec, exec, vcc
	s_cbranch_execz .LBB3_717
; %bb.713:
	s_mov_b64 s[12:13], exec
	v_mbcnt_lo_u32_b32 v1, s12, 0
	v_mbcnt_hi_u32_b32 v1, s13, v1
	v_cmp_eq_u32_e32 vcc, 0, v1
                                        ; implicit-def: $vgpr3
	s_and_saveexec_b64 s[10:11], vcc
	s_cbranch_execz .LBB3_715
; %bb.714:
	s_bcnt1_i32_b64 s12, s[12:13]
	v_lshlrev_b32_e32 v3, 2, v18
	v_mov_b32_e32 v6, s12
	ds_add_rtn_u32 v3, v3, v6 offset:2112
.LBB3_715:
	s_or_b64 exec, exec, s[10:11]
	s_waitcnt lgkmcnt(0)
	v_readfirstlane_b32 s10, v3
	v_add_u32_e32 v1, s10, v1
	v_cmp_lt_i32_e32 vcc, v1, v7
	s_and_b64 exec, exec, vcc
	s_cbranch_execz .LBB3_717
; %bb.716:
	s_ashr_i32 s35, s34, 31
	s_lshl_b64 s[10:11], s[34:35], 2
	s_getpc_b64 s[12:13]
	s_add_u32 s12, s12, llvm.amdgcn.dynlds.offset.table@rel32@lo+4
	s_addc_u32 s13, s13, llvm.amdgcn.dynlds.offset.table@rel32@hi+12
	s_add_u32 s10, s10, s12
	s_addc_u32 s11, s11, s13
	s_load_dword s10, s[10:11], 0x0
	s_waitcnt lgkmcnt(0)
	v_lshl_add_u32 v1, v1, 2, s10
	ds_write_b32 v1, v0
.LBB3_717:
	s_or_b64 exec, exec, s[6:7]
.LBB3_718:
	s_or_b64 exec, exec, s[8:9]
	s_waitcnt lgkmcnt(0)
	s_barrier
	v_cmp_lt_i32_e32 vcc, v14, v7
	s_and_saveexec_b64 s[6:7], vcc
	s_cbranch_execz .LBB3_721
.LBB3_719:
	s_ashr_i32 s35, s34, 31
	v_cndmask_b32_e64 v2, v2, 0, s[4:5]
	s_lshl_b64 s[4:5], s[34:35], 2
	s_getpc_b64 s[8:9]
	s_add_u32 s8, s8, llvm.amdgcn.dynlds.offset.table@rel32@lo+4
	s_addc_u32 s9, s9, llvm.amdgcn.dynlds.offset.table@rel32@hi+12
	s_add_u32 s4, s4, s8
	s_addc_u32 s5, s5, s9
	s_load_dword s4, s[4:5], 0x0
	v_add_co_u32_e32 v0, vcc, v4, v15
	v_addc_co_u32_e32 v1, vcc, 0, v5, vcc
	s_waitcnt lgkmcnt(0)
	v_add_u32_e32 v3, s4, v15
	s_mov_b64 s[4:5], 0
.LBB3_720:                              ; =>This Inner Loop Header: Depth=1
	ds_read_b32 v4, v3
	v_add_u32_e32 v14, 0x200, v14
	v_cmp_ge_i32_e32 vcc, v14, v7
	s_or_b64 s[4:5], vcc, s[4:5]
	v_add_u32_e32 v3, 0x800, v3
	s_waitcnt lgkmcnt(0)
	v_sub_u32_e32 v4, v4, v2
	flat_store_dword v[0:1], v4
	v_add_co_u32_e32 v0, vcc, 0x800, v0
	v_addc_co_u32_e32 v1, vcc, 0, v1, vcc
	s_andn2_b64 exec, exec, s[4:5]
	s_cbranch_execnz .LBB3_720
.LBB3_721:
	s_or_b64 exec, exec, s[6:7]
.LBB3_722:
	s_or_b64 exec, exec, s[36:37]
	v_readlane_b32 s30, v36, 21
	v_readlane_b32 s31, v36, 22
	;; [unrolled: 1-line block ×23, first 2 shown]
	s_xor_saveexec_b64 s[4:5], -1
	buffer_load_dword v36, off, s[0:3], s32 ; 4-byte Folded Reload
	s_mov_b64 exec, s[4:5]
	s_waitcnt vmcnt(0) lgkmcnt(0)
	s_setpc_b64 s[30:31]
.Lfunc_end3:
	.size	_ZN4vllmL13topKPerRowJobILi512ELi2048ELb0ELb0ELb0EEEvPKiPKfiiPiPfii, .Lfunc_end3-_ZN4vllmL13topKPerRowJobILi512ELi2048ELb0ELb0ELb0EEEvPKiPKfiiPiPfii
                                        ; -- End function
	.section	.AMDGPU.csdata,"",@progbits
; Function info:
; codeLenInByte = 29288
; NumSgprs: 59
; NumVgprs: 37
; NumAgprs: 0
; TotalNumVgprs: 37
; ScratchSize: 8
; MemoryBound: 0
	.section	.text._ZN4vllmL16topKPerRowDecodeILi512ELb0ELb0ELb0EEEvPKfPKiPiiiiiiPfiS4_,"axG",@progbits,_ZN4vllmL16topKPerRowDecodeILi512ELb0ELb0ELb0EEEvPKfPKiPiiiiiiPfiS4_,comdat
	.globl	_ZN4vllmL16topKPerRowDecodeILi512ELb0ELb0ELb0EEEvPKfPKiPiiiiiiPfiS4_ ; -- Begin function _ZN4vllmL16topKPerRowDecodeILi512ELb0ELb0ELb0EEEvPKfPKiPiiiiiiPfiS4_
	.p2align	8
	.type	_ZN4vllmL16topKPerRowDecodeILi512ELb0ELb0ELb0EEEvPKfPKiPiiiiiiPfiS4_,@function
_ZN4vllmL16topKPerRowDecodeILi512ELb0ELb0ELb0EEEvPKfPKiPiiiiiiPfiS4_: ; @_ZN4vllmL16topKPerRowDecodeILi512ELb0ELb0ELb0EEEvPKfPKiPiiiiiiPfiS4_
; %bb.0:
	s_mov_b32 s12, s8
	s_load_dwordx4 s[16:19], s[4:5], 0x18
	s_load_dword s8, s[4:5], 0x28
	s_add_u32 flat_scratch_lo, s6, s11
	s_addc_u32 flat_scratch_hi, s7, 0
	s_add_u32 s0, s0, s11
	s_addc_u32 s1, s1, 0
	s_mov_b32 s13, s9
	s_waitcnt lgkmcnt(0)
	s_abs_i32 s9, s19
	v_cvt_f32_u32_e32 v1, s9
	s_sub_i32 s15, 0, s9
	s_abs_i32 s11, s12
	s_xor_b32 s14, s12, s19
	v_rcp_iflag_f32_e32 v1, v1
	s_ashr_i32 s14, s14, 31
	s_load_dwordx4 s[20:23], s[4:5], 0x0
	s_load_dwordx2 s[6:7], s[4:5], 0x10
	s_mov_b32 s32, 0
	v_mul_f32_e32 v1, 0x4f7ffffe, v1
	v_cvt_u32_f32_e32 v1, v1
	v_readfirstlane_b32 s24, v1
	s_mul_i32 s15, s15, s24
	s_mul_hi_u32 s15, s24, s15
	s_add_i32 s24, s24, s15
	s_mul_hi_u32 s15, s11, s24
	s_mul_i32 s24, s15, s9
	s_sub_i32 s11, s11, s24
	s_add_i32 s25, s15, 1
	s_sub_i32 s24, s11, s9
	s_cmp_ge_u32 s11, s9
	s_cselect_b32 s15, s25, s15
	s_cselect_b32 s11, s24, s11
	s_add_i32 s24, s15, 1
	s_cmp_ge_u32 s11, s9
	s_cselect_b32 s9, s24, s15
	s_xor_b32 s9, s9, s14
	s_sub_i32 s14, s9, s14
	s_cmp_eq_u32 s8, 0
	s_cselect_b64 s[8:9], -1, 0
	s_and_b64 vcc, s[8:9], exec
	s_cselect_b32 s8, s14, s12
	s_ashr_i32 s9, s8, 31
	s_lshl_b64 s[8:9], s[8:9], 2
	s_waitcnt lgkmcnt(0)
	s_add_u32 s8, s22, s8
	s_addc_u32 s9, s23, s9
	s_load_dword s15, s[8:9], 0x0
	s_cbranch_vccnz .LBB4_2
; %bb.1:
	s_waitcnt lgkmcnt(0)
	s_max_i32 s11, s15, 0
	s_cbranch_execz .LBB4_3
	s_branch .LBB4_4
.LBB4_2:
                                        ; implicit-def: $sgpr11
.LBB4_3:
	s_mul_i32 s14, s14, s19
	s_sub_i32 s8, s12, s14
	s_sub_i32 s8, s8, s19
	s_waitcnt lgkmcnt(0)
	s_add_i32 s8, s8, s15
	s_max_i32 s8, s8, -1
	s_add_i32 s11, s8, 1
.LBB4_4:
	s_mul_hi_i32 s9, s18, s12
	s_mul_i32 s8, s18, s12
	s_lshl_b64 s[8:9], s[8:9], 2
	s_add_u32 s19, s6, s8
	s_addc_u32 s22, s7, s9
	s_mul_hi_i32 s7, s16, s12
	s_mul_i32 s6, s16, s12
	s_lshl_b64 s[6:7], s[6:7], 2
	s_add_u32 s6, s20, s6
	s_addc_u32 s7, s21, s7
	s_add_u32 s8, s4, 0x48
	s_addc_u32 s9, s5, 0
	s_mov_b32 s14, s10
	s_waitcnt lgkmcnt(0)
	s_mov_b32 s15, 0
	v_mov_b32_e32 v31, v0
	v_mov_b32_e32 v0, s6
	v_mov_b32_e32 v1, s7
	v_mov_b32_e32 v2, 0
	v_mov_b32_e32 v3, s11
	v_mov_b32_e32 v4, s19
	v_mov_b32_e32 v5, s22
	v_mov_b32_e32 v6, s17
	v_mov_b32_e32 v7, s18
	s_getpc_b64 s[4:5]
	s_add_u32 s4, s4, _ZN4vllmL13topKPerRowJobILi512ELi2048ELb0ELb0ELb0EEEvPKiPKfiiPiPfii@rel32@lo+4
	s_addc_u32 s5, s5, _ZN4vllmL13topKPerRowJobILi512ELi2048ELb0ELb0ELb0EEEvPKiPKfiiPiPfii@rel32@hi+12
	s_swappc_b64 s[30:31], s[4:5]
	s_endpgm
	.section	.rodata,"a",@progbits
	.p2align	6, 0x0
	.amdhsa_kernel _ZN4vllmL16topKPerRowDecodeILi512ELb0ELb0ELb0EEEvPKfPKiPiiiiiiPfiS4_
		.amdhsa_group_segment_fixed_size 33056
		.amdhsa_private_segment_fixed_size 8
		.amdhsa_kernarg_size 328
		.amdhsa_user_sgpr_count 8
		.amdhsa_user_sgpr_private_segment_buffer 1
		.amdhsa_user_sgpr_dispatch_ptr 0
		.amdhsa_user_sgpr_queue_ptr 0
		.amdhsa_user_sgpr_kernarg_segment_ptr 1
		.amdhsa_user_sgpr_dispatch_id 0
		.amdhsa_user_sgpr_flat_scratch_init 1
		.amdhsa_user_sgpr_kernarg_preload_length 0
		.amdhsa_user_sgpr_kernarg_preload_offset 0
		.amdhsa_user_sgpr_private_segment_size 0
		.amdhsa_uses_dynamic_stack 0
		.amdhsa_system_sgpr_private_segment_wavefront_offset 1
		.amdhsa_system_sgpr_workgroup_id_x 1
		.amdhsa_system_sgpr_workgroup_id_y 1
		.amdhsa_system_sgpr_workgroup_id_z 1
		.amdhsa_system_sgpr_workgroup_info 0
		.amdhsa_system_vgpr_workitem_id 2
		.amdhsa_next_free_vgpr 37
		.amdhsa_next_free_sgpr 55
		.amdhsa_accum_offset 40
		.amdhsa_reserve_vcc 1
		.amdhsa_reserve_flat_scratch 1
		.amdhsa_float_round_mode_32 0
		.amdhsa_float_round_mode_16_64 0
		.amdhsa_float_denorm_mode_32 3
		.amdhsa_float_denorm_mode_16_64 3
		.amdhsa_dx10_clamp 1
		.amdhsa_ieee_mode 1
		.amdhsa_fp16_overflow 0
		.amdhsa_tg_split 0
		.amdhsa_exception_fp_ieee_invalid_op 0
		.amdhsa_exception_fp_denorm_src 0
		.amdhsa_exception_fp_ieee_div_zero 0
		.amdhsa_exception_fp_ieee_overflow 0
		.amdhsa_exception_fp_ieee_underflow 0
		.amdhsa_exception_fp_ieee_inexact 0
		.amdhsa_exception_int_div_zero 0
	.end_amdhsa_kernel
	.section	.text._ZN4vllmL16topKPerRowDecodeILi512ELb0ELb0ELb0EEEvPKfPKiPiiiiiiPfiS4_,"axG",@progbits,_ZN4vllmL16topKPerRowDecodeILi512ELb0ELb0ELb0EEEvPKfPKiPiiiiiiPfiS4_,comdat
.Lfunc_end4:
	.size	_ZN4vllmL16topKPerRowDecodeILi512ELb0ELb0ELb0EEEvPKfPKiPiiiiiiPfiS4_, .Lfunc_end4-_ZN4vllmL16topKPerRowDecodeILi512ELb0ELb0ELb0EEEvPKfPKiPiiiiiiPfiS4_
                                        ; -- End function
	.section	.AMDGPU.csdata,"",@progbits
; Kernel info:
; codeLenInByte = 392
; NumSgprs: 61
; NumVgprs: 37
; NumAgprs: 0
; TotalNumVgprs: 37
; ScratchSize: 8
; MemoryBound: 0
; FloatMode: 240
; IeeeMode: 1
; LDSByteSize: 33056 bytes/workgroup (compile time only)
; SGPRBlocks: 7
; VGPRBlocks: 4
; NumSGPRsForWavesPerEU: 61
; NumVGPRsForWavesPerEU: 37
; AccumOffset: 40
; Occupancy: 2
; WaveLimiterHint : 0
; COMPUTE_PGM_RSRC2:SCRATCH_EN: 1
; COMPUTE_PGM_RSRC2:USER_SGPR: 8
; COMPUTE_PGM_RSRC2:TRAP_HANDLER: 0
; COMPUTE_PGM_RSRC2:TGID_X_EN: 1
; COMPUTE_PGM_RSRC2:TGID_Y_EN: 1
; COMPUTE_PGM_RSRC2:TGID_Z_EN: 1
; COMPUTE_PGM_RSRC2:TIDIG_COMP_CNT: 2
; COMPUTE_PGM_RSRC3_GFX90A:ACCUM_OFFSET: 9
; COMPUTE_PGM_RSRC3_GFX90A:TG_SPLIT: 0
	.text
	.p2align	2                               ; -- Begin function _ZN4vllmL13topKPerRowJobILi512ELi2048ELb1ELb0ELb0EEEvPKiPKfiiPiPfii
	.type	_ZN4vllmL13topKPerRowJobILi512ELi2048ELb1ELb0ELb0EEEvPKiPKfiiPiPfii,@function
_ZN4vllmL13topKPerRowJobILi512ELi2048ELb1ELb0ELb0EEEvPKiPKfiiPiPfii: ; @_ZN4vllmL13topKPerRowJobILi512ELi2048ELb1ELb0ELb0EEEvPKiPKfiiPiPfii
; %bb.0:
	s_waitcnt vmcnt(0) expcnt(0) lgkmcnt(0)
	s_or_saveexec_b64 s[4:5], -1
	buffer_store_dword v40, off, s[0:3], s32 ; 4-byte Folded Spill
	s_mov_b64 exec, s[4:5]
	v_writelane_b32 v40, s34, 0
	v_writelane_b32 v40, s35, 1
	;; [unrolled: 1-line block ×27, first 2 shown]
	v_mov_b32_e32 v8, v3
	v_sub_u32_e32 v22, v8, v2
	s_mov_b32 s52, s15
	v_cmp_le_i32_e32 vcc, v22, v7
	v_and_b32_e32 v18, 0x3ff, v31
	s_and_saveexec_b64 s[4:5], vcc
	s_xor_b64 s[6:7], exec, s[4:5]
	s_cbranch_execz .LBB5_18
; %bb.1:
	v_cmp_lt_i32_e32 vcc, v18, v22
	s_and_saveexec_b64 s[10:11], vcc
	s_cbranch_execz .LBB5_9
; %bb.2:
	v_xad_u32 v0, v18, -1, v8
	v_sub_u32_e32 v1, v0, v2
	s_movk_i32 s4, 0x5ff
	v_cmp_lt_u32_e32 vcc, s4, v1
	s_mov_b64 s[4:5], -1
	v_mov_b32_e32 v0, v18
	s_and_saveexec_b64 s[16:17], vcc
	s_cbranch_execz .LBB5_6
; %bb.3:
	v_lshrrev_b32_e32 v0, 9, v1
	v_add_u32_e32 v3, 1, v0
	v_and_b32_e32 v6, 0xfffffc, v3
	v_add_u32_e32 v19, 0x200, v18
	s_mov_b64 s[18:19], 0
	v_mov_b32_e32 v1, 0
	v_mov_b32_e32 v9, v6
	;; [unrolled: 1-line block ×3, first 2 shown]
	v_pk_mov_b32 v[10:11], v[18:19], v[18:19] op_sel:[0,1]
.LBB5_4:                                ; =>This Inner Loop Header: Depth=1
	v_mov_b32_e32 v0, v10
	v_lshlrev_b64 v[20:21], 2, v[0:1]
	v_add_u32_e32 v16, 0x400, v10
	v_mov_b32_e32 v17, v1
	v_add_co_u32_e64 v20, s[4:5], v4, v20
	v_add_u32_e32 v9, -4, v9
	v_mov_b32_e32 v0, v11
	v_lshlrev_b64 v[16:17], 2, v[16:17]
	v_addc_co_u32_e64 v21, s[4:5], v5, v21, s[4:5]
	v_add_u32_e32 v14, 0x400, v11
	v_mov_b32_e32 v15, v1
	v_cmp_eq_u32_e32 vcc, 0, v9
	v_lshlrev_b64 v[24:25], 2, v[0:1]
	v_add_co_u32_e64 v16, s[4:5], v4, v16
	v_lshlrev_b64 v[14:15], 2, v[14:15]
	v_addc_co_u32_e64 v17, s[4:5], v5, v17, s[4:5]
	s_or_b64 s[18:19], vcc, s[18:19]
	v_add_co_u32_e32 v24, vcc, v4, v24
	v_add_u32_e32 v13, 0x200, v12
	v_add_u32_e32 v19, 0x400, v12
	;; [unrolled: 1-line block ×5, first 2 shown]
	v_add_co_u32_e64 v14, s[4:5], v4, v14
	v_addc_co_u32_e32 v25, vcc, v5, v25, vcc
	flat_store_dword v[20:21], v12
	v_add_u32_e32 v12, 0x800, v12
	v_addc_co_u32_e64 v15, s[4:5], v5, v15, s[4:5]
	flat_store_dword v[24:25], v13
	flat_store_dword v[16:17], v19
	flat_store_dword v[14:15], v23
	s_andn2_b64 exec, exec, s[18:19]
	s_cbranch_execnz .LBB5_4
; %bb.5:
	s_or_b64 exec, exec, s[18:19]
	v_cmp_ne_u32_e32 vcc, v3, v6
	v_lshl_or_b32 v0, v6, 9, v18
	s_orn2_b64 s[4:5], vcc, exec
.LBB5_6:
	s_or_b64 exec, exec, s[16:17]
	s_and_b64 exec, exec, s[4:5]
	s_cbranch_execz .LBB5_9
; %bb.7:
	v_mov_b32_e32 v1, 0
	v_lshlrev_b64 v[10:11], 2, v[0:1]
	v_add_co_u32_e32 v10, vcc, v4, v10
	v_addc_co_u32_e32 v11, vcc, v5, v11, vcc
	s_mov_b64 s[16:17], 0
.LBB5_8:                                ; =>This Inner Loop Header: Depth=1
	flat_store_dword v[10:11], v0
	v_add_u32_e32 v0, 0x200, v0
	v_add_co_u32_e32 v10, vcc, 0x800, v10
	v_cmp_ge_i32_e64 s[4:5], v0, v22
	s_or_b64 s[16:17], s[4:5], s[16:17]
	v_addc_co_u32_e32 v11, vcc, 0, v11, vcc
	s_andn2_b64 exec, exec, s[16:17]
	s_cbranch_execnz .LBB5_8
.LBB5_9:
	s_or_b64 exec, exec, s[10:11]
	v_add_u32_e32 v0, v22, v18
	v_cmp_lt_i32_e32 vcc, v0, v7
	s_and_saveexec_b64 s[10:11], vcc
	s_cbranch_execz .LBB5_17
; %bb.10:
	v_add_u32_e32 v1, v18, v8
	v_sub_u32_e32 v1, v1, v2
	v_add_u32_e32 v1, 0x200, v1
	v_max_i32_e32 v1, v7, v1
	v_not_b32_e32 v3, v18
	v_add3_u32 v1, v1, v2, v3
	v_sub_u32_e32 v1, v1, v8
	s_movk_i32 s4, 0x5ff
	v_cmp_lt_u32_e32 vcc, s4, v1
	s_mov_b64 s[4:5], -1
	s_and_saveexec_b64 s[16:17], vcc
	s_cbranch_execz .LBB5_14
; %bb.11:
	v_lshrrev_b32_e32 v1, 9, v1
	v_add_u32_e32 v6, 1, v1
	v_and_b32_e32 v8, 0xfffffc, v6
	v_add_u32_e32 v1, 0x200, v0
	s_mov_b64 s[18:19], 0
	v_mov_b32_e32 v9, -1
	v_mov_b32_e32 v10, v8
	v_pk_mov_b32 v[2:3], v[0:1], v[0:1] op_sel:[0,1]
.LBB5_12:                               ; =>This Inner Loop Header: Depth=1
	v_add_u32_e32 v12, 0x400, v2
	v_ashrrev_i32_e32 v19, 31, v2
	v_mov_b32_e32 v18, v2
	v_add_u32_e32 v10, -4, v10
	v_ashrrev_i32_e32 v13, 31, v12
	v_add_u32_e32 v14, 0x400, v3
	v_lshlrev_b64 v[18:19], 2, v[18:19]
	v_cmp_eq_u32_e32 vcc, 0, v10
	v_lshlrev_b64 v[12:13], 2, v[12:13]
	v_ashrrev_i32_e32 v17, 31, v3
	v_mov_b32_e32 v16, v3
	v_ashrrev_i32_e32 v15, 31, v14
	v_add_co_u32_e64 v18, s[4:5], v4, v18
	s_or_b64 s[18:19], vcc, s[18:19]
	v_add_co_u32_e32 v12, vcc, v4, v12
	v_lshlrev_b64 v[16:17], 2, v[16:17]
	v_addc_co_u32_e64 v19, s[4:5], v5, v19, s[4:5]
	v_lshlrev_b64 v[14:15], 2, v[14:15]
	v_addc_co_u32_e32 v13, vcc, v5, v13, vcc
	v_add_u32_e32 v3, 0x800, v3
	v_add_u32_e32 v2, 0x800, v2
	v_add_co_u32_e64 v16, s[4:5], v4, v16
	v_add_co_u32_e32 v14, vcc, v4, v14
	v_addc_co_u32_e64 v17, s[4:5], v5, v17, s[4:5]
	v_addc_co_u32_e32 v15, vcc, v5, v15, vcc
	flat_store_dword v[18:19], v9
	flat_store_dword v[16:17], v9
	;; [unrolled: 1-line block ×4, first 2 shown]
	s_andn2_b64 exec, exec, s[18:19]
	s_cbranch_execnz .LBB5_12
; %bb.13:
	s_or_b64 exec, exec, s[18:19]
	v_cmp_ne_u32_e32 vcc, v6, v8
	v_lshl_add_u32 v0, v8, 9, v0
	s_orn2_b64 s[4:5], vcc, exec
.LBB5_14:
	s_or_b64 exec, exec, s[16:17]
	s_and_b64 exec, exec, s[4:5]
	s_cbranch_execz .LBB5_17
; %bb.15:
	v_ashrrev_i32_e32 v1, 31, v0
	v_lshlrev_b64 v[2:3], 2, v[0:1]
	v_add_co_u32_e32 v2, vcc, v4, v2
	v_addc_co_u32_e32 v3, vcc, v5, v3, vcc
	s_mov_b64 s[16:17], 0
	v_mov_b32_e32 v1, -1
.LBB5_16:                               ; =>This Inner Loop Header: Depth=1
	v_add_u32_e32 v0, 0x200, v0
	flat_store_dword v[2:3], v1
	v_add_co_u32_e32 v2, vcc, 0x800, v2
	v_cmp_ge_i32_e64 s[4:5], v0, v7
	s_or_b64 s[16:17], s[4:5], s[16:17]
	v_addc_co_u32_e32 v3, vcc, 0, v3, vcc
	s_andn2_b64 exec, exec, s[16:17]
	s_cbranch_execnz .LBB5_16
.LBB5_17:
	s_or_b64 exec, exec, s[10:11]
                                        ; implicit-def: $vgpr22
                                        ; implicit-def: $vgpr18
                                        ; implicit-def: $vgpr0
                                        ; implicit-def: $vgpr1
                                        ; implicit-def: $vgpr2
                                        ; implicit-def: $vgpr8
                                        ; implicit-def: $vgpr4
                                        ; implicit-def: $vgpr5
                                        ; implicit-def: $vgpr6
                                        ; implicit-def: $vgpr7
                                        ; implicit-def: $vgpr31
.LBB5_18:
	s_andn2_saveexec_b64 s[54:55], s[6:7]
	s_cbranch_execz .LBB5_740
; %bb.19:
	v_cmp_ne_u32_e64 s[24:25], 0, v18
	v_cmp_eq_u32_e64 s[10:11], 0, v18
	s_and_saveexec_b64 s[4:5], s[10:11]
	s_cbranch_execz .LBB5_21
; %bb.20:
	s_mov_b32 s6, 0x8000
	v_mov_b32_e32 v3, 0
	v_add_u32_e64 v9, s6, 0
	ds_write2_b32 v9, v3, v3 offset0:68 offset1:70
.LBB5_21:
	s_or_b64 exec, exec, s[4:5]
	v_lshrrev_b32_e32 v3, 9, v18
	v_xor_b32_e32 v9, 3, v3
	v_lshlrev_b32_e32 v19, 2, v18
	v_add_u32_e32 v23, 0x4840, v19
	v_mov_b32_e32 v3, 0
	v_add_u32_e32 v10, 64, v19
	v_cmp_lt_u32_e64 s[18:19], 2, v9
	v_cmp_lt_u32_e64 s[20:21], 1, v9
	s_waitcnt lgkmcnt(0)
	s_barrier
	ds_write2st64_b32 v10, v3, v3 offset0:72 offset1:80
	s_and_saveexec_b64 s[4:5], s[20:21]
	s_cbranch_execz .LBB5_23
; %bb.22:
	ds_write_b32 v23, v3 offset:4096
.LBB5_23:
	s_or_b64 exec, exec, s[4:5]
	s_and_saveexec_b64 s[4:5], s[18:19]
	s_cbranch_execz .LBB5_25
; %bb.24:
	v_mov_b32_e32 v3, 0
	ds_write_b32 v23, v3 offset:6144
.LBB5_25:
	s_or_b64 exec, exec, s[4:5]
	v_cmp_eq_u32_e64 s[4:5], 1, v6
	v_cmp_ne_u32_e64 s[6:7], 1, v6
	v_add_u32_e32 v9, v18, v2
	s_waitcnt lgkmcnt(0)
	s_barrier
	s_and_saveexec_b64 s[16:17], s[6:7]
	s_xor_b64 s[16:17], exec, s[16:17]
	s_cbranch_execz .LBB5_30
; %bb.26:
	v_add_u32_e32 v3, v18, v2
	v_cmp_lt_i32_e32 vcc, v3, v8
	s_and_saveexec_b64 s[22:23], vcc
	s_cbranch_execz .LBB5_29
; %bb.27:
	v_mul_lo_u32 v10, v6, v3
	v_lshlrev_b32_e32 v12, 9, v6
	s_mov_b64 s[26:27], 0
	v_mov_b32_e32 v13, 1
.LBB5_28:                               ; =>This Inner Loop Header: Depth=1
	v_ashrrev_i32_e32 v11, 31, v10
	v_lshlrev_b64 v[14:15], 2, v[10:11]
	v_add_co_u32_e32 v14, vcc, v0, v14
	v_addc_co_u32_e32 v15, vcc, v1, v15, vcc
	flat_load_dword v11, v[14:15]
	v_add_u32_e32 v3, 0x200, v3
	v_add_u32_e32 v10, v10, v12
	s_waitcnt vmcnt(0) lgkmcnt(0)
	v_cvt_f16_f32_e32 v11, v11
	v_xor_b32_e32 v14, -1, v11
	v_and_b32_e32 v14, 0x7fe0, v14
	v_cmp_gt_i16_e32 vcc, 0, v11
	v_cndmask_b32_e32 v11, v14, v11, vcc
	v_lshrrev_b16_e32 v11, 5, v11
	v_lshlrev_b32_e32 v11, 2, v11
	ds_add_u32 v11, v13 offset:18496
	v_cmp_ge_i32_e32 vcc, v3, v8
	s_or_b64 s[26:27], vcc, s[26:27]
	s_andn2_b64 exec, exec, s[26:27]
	s_cbranch_execnz .LBB5_28
.LBB5_29:
	s_or_b64 exec, exec, s[22:23]
.LBB5_30:
	s_or_saveexec_b64 s[34:35], s[16:17]
	v_ashrrev_i32_e32 v3, 31, v2
	s_xor_b64 exec, exec, s[34:35]
	s_cbranch_execz .LBB5_39
; %bb.31:
	v_lshlrev_b64 v[12:13], 2, v[2:3]
	v_add_co_u32_e32 v14, vcc, v0, v12
	v_and_b32_e32 v10, 15, v14
	v_addc_co_u32_e32 v15, vcc, v1, v13, vcc
	v_mov_b32_e32 v11, 0
	v_sub_u32_e32 v16, 16, v10
	v_lshrrev_b32_e32 v16, 2, v16
	v_cmp_ne_u64_e32 vcc, 0, v[10:11]
	v_cndmask_b32_e32 v10, 0, v16, vcc
	v_min_i32_e32 v10, v10, v22
	v_sub_u32_e32 v16, v22, v10
	v_ashrrev_i32_e32 v17, 31, v16
	v_lshrrev_b32_e32 v17, 30, v17
	v_add_u32_e32 v16, v16, v17
	v_ashrrev_i32_e32 v16, 2, v16
	s_mov_b64 s[36:37], 0
	v_ashrrev_i32_e32 v11, 31, v10
	v_cmp_gt_i32_e32 vcc, v16, v18
	s_and_saveexec_b64 s[38:39], vcc
	s_cbranch_execz .LBB5_34
; %bb.32:
	v_lshlrev_b32_e32 v17, 4, v18
	v_lshlrev_b64 v[20:21], 2, v[10:11]
	v_add_co_u32_e32 v11, vcc, v17, v20
	v_addc_co_u32_e32 v17, vcc, 0, v21, vcc
	v_add_co_u32_e32 v11, vcc, v11, v12
	v_addc_co_u32_e32 v13, vcc, v17, v13, vcc
	;; [unrolled: 2-line block ×3, first 2 shown]
	v_mov_b32_e32 v11, 1
	v_mov_b32_e32 v17, v18
.LBB5_33:                               ; =>This Inner Loop Header: Depth=1
	flat_load_dwordx4 v[24:27], v[12:13]
	v_add_u32_e32 v17, 0x200, v17
	v_add_co_u32_e32 v12, vcc, 0x2000, v12
	v_cmp_ge_i32_e64 s[16:17], v17, v16
	s_or_b64 s[36:37], s[16:17], s[36:37]
	v_addc_co_u32_e32 v13, vcc, 0, v13, vcc
	s_waitcnt vmcnt(0) lgkmcnt(0)
	v_cvt_f16_f32_e32 v20, v24
	v_cvt_f16_f32_e32 v21, v25
	;; [unrolled: 1-line block ×4, first 2 shown]
	v_xor_b32_e32 v26, -1, v20
	v_xor_b32_e32 v27, -1, v21
	;; [unrolled: 1-line block ×4, first 2 shown]
	v_and_b32_e32 v26, 0x7fe0, v26
	v_cmp_gt_i16_e64 s[30:31], 0, v20
	v_and_b32_e32 v27, 0x7fe0, v27
	v_cmp_gt_i16_e64 s[22:23], 0, v21
	;; [unrolled: 2-line block ×4, first 2 shown]
	v_cndmask_b32_e64 v20, v26, v20, s[30:31]
	v_cndmask_b32_e64 v21, v27, v21, s[22:23]
	;; [unrolled: 1-line block ×4, first 2 shown]
	v_lshrrev_b16_e32 v20, 5, v20
	v_lshrrev_b16_e32 v21, 5, v21
	;; [unrolled: 1-line block ×4, first 2 shown]
	v_lshlrev_b32_e32 v20, 2, v20
	v_lshlrev_b32_e32 v21, 2, v21
	;; [unrolled: 1-line block ×4, first 2 shown]
	ds_add_u32 v20, v11 offset:18496
	ds_add_u32 v21, v11 offset:18496
	ds_add_u32 v24, v11 offset:18496
	ds_add_u32 v25, v11 offset:18496
	s_andn2_b64 exec, exec, s[36:37]
	s_cbranch_execnz .LBB5_33
.LBB5_34:
	s_or_b64 exec, exec, s[38:39]
	v_cmp_gt_u32_e32 vcc, v10, v18
	s_and_saveexec_b64 s[16:17], vcc
	s_cbranch_execz .LBB5_36
; %bb.35:
	v_add_co_u32_e32 v12, vcc, v14, v19
	v_addc_co_u32_e32 v13, vcc, 0, v15, vcc
	flat_load_dword v11, v[12:13]
	s_waitcnt vmcnt(0) lgkmcnt(0)
	v_cvt_f16_f32_e32 v11, v11
	v_xor_b32_e32 v12, -1, v11
	v_and_b32_e32 v12, 0x7fe0, v12
	v_cmp_gt_i16_e32 vcc, 0, v11
	v_cndmask_b32_e32 v11, v12, v11, vcc
	v_lshrrev_b16_e32 v11, 5, v11
	v_lshlrev_b32_e32 v11, 2, v11
	v_mov_b32_e32 v12, 1
	ds_add_u32 v11, v12 offset:18496
.LBB5_36:
	s_or_b64 exec, exec, s[16:17]
	v_lshlrev_b32_e32 v11, 2, v16
	v_add3_u32 v10, v10, v18, v11
	v_cmp_lt_i32_e32 vcc, v10, v22
	s_and_saveexec_b64 s[16:17], vcc
	s_cbranch_execz .LBB5_38
; %bb.37:
	v_ashrrev_i32_e32 v11, 31, v10
	v_lshlrev_b64 v[10:11], 2, v[10:11]
	v_add_co_u32_e32 v10, vcc, v14, v10
	v_addc_co_u32_e32 v11, vcc, v15, v11, vcc
	flat_load_dword v10, v[10:11]
	s_waitcnt vmcnt(0) lgkmcnt(0)
	v_cvt_f16_f32_e32 v10, v10
	v_xor_b32_e32 v11, -1, v10
	v_and_b32_e32 v11, 0x7fe0, v11
	v_cmp_gt_i16_e32 vcc, 0, v10
	v_cndmask_b32_e32 v10, v11, v10, vcc
	v_lshrrev_b16_e32 v10, 5, v10
	v_lshlrev_b32_e32 v10, 2, v10
	v_mov_b32_e32 v11, 1
	ds_add_u32 v10, v11 offset:18496
.LBB5_38:
	s_or_b64 exec, exec, s[16:17]
.LBB5_39:
	s_or_b64 exec, exec, s[34:35]
	s_waitcnt lgkmcnt(0)
	s_barrier
	s_load_dwordx2 s[16:17], s[8:9], 0x0
	s_load_dword s15, s[8:9], 0x8
	v_mov_b32_e32 v10, 0
	v_or_b32_e32 v28, 0x4000, v19
	v_lshrrev_b32_e32 v17, 3, v18
	s_waitcnt lgkmcnt(0)
	s_cmp_lt_u32 s13, s17
	s_cselect_b32 s13, 14, 20
	s_cmp_lt_u32 s14, s15
	s_cselect_b32 s14, 16, 22
	s_add_u32 s14, s8, s14
	s_addc_u32 s15, s9, 0
	s_add_u32 s22, s8, s13
	s_addc_u32 s23, s9, 0
	s_cmp_lt_u32 s12, s16
	s_cselect_b32 s12, 12, 18
	s_add_u32 s8, s8, s12
	s_addc_u32 s9, s9, 0
	global_load_ushort v15, v10, s[14:15]
	global_load_ushort v11, v10, s[22:23]
	;; [unrolled: 1-line block ×3, first 2 shown]
	ds_read_b32 v12, v10 offset:33048
	ds_read_b32 v14, v28 offset:2112
	v_lshrrev_b32_e32 v20, 2, v18
	v_mov_b32_e32 v13, 0x4000
	v_and_b32_e32 v17, 0x7c, v17
	v_lshl_add_u32 v20, v18, 3, v20
	v_cmp_lt_u32_e64 s[22:23], 63, v18
	v_cmp_gt_u32_e64 s[12:13], 64, v18
	v_add_u32_e32 v26, v28, v17
	v_lshl_add_u32 v24, v20, 2, v13
	s_waitcnt lgkmcnt(0)
	s_barrier
	ds_write_b32 v26, v14
	s_waitcnt lgkmcnt(0)
	s_barrier
	s_waitcnt vmcnt(0)
	v_readfirstlane_b32 s27, v15
	v_readfirstlane_b32 s26, v11
	;; [unrolled: 1-line block ×3, first 2 shown]
	s_and_saveexec_b64 s[8:9], s[12:13]
	s_cbranch_execz .LBB5_41
; %bb.40:
	ds_read2_b32 v[16:17], v24 offset1:1
	ds_read2_b32 v[20:21], v24 offset0:2 offset1:3
	ds_read2_b32 v[32:33], v24 offset0:4 offset1:5
	;; [unrolled: 1-line block ×3, first 2 shown]
	v_mbcnt_lo_u32_b32 v15, -1, 0
	s_waitcnt lgkmcnt(3)
	v_add_u32_e32 v25, v17, v16
	s_waitcnt lgkmcnt(2)
	v_add3_u32 v25, v25, v20, v21
	s_waitcnt lgkmcnt(1)
	v_add3_u32 v25, v25, v32, v33
	v_mbcnt_hi_u32_b32 v15, -1, v15
	s_waitcnt lgkmcnt(0)
	v_add3_u32 v25, v25, v34, v35
	v_and_b32_e32 v27, 15, v15
	v_cmp_ne_u32_e32 vcc, 0, v27
	v_mov_b32_dpp v29, v25 row_shr:1 row_mask:0xf bank_mask:0xf
	v_cndmask_b32_e32 v29, 0, v29, vcc
	v_add_u32_e32 v25, v29, v25
	v_cmp_lt_u32_e32 vcc, 1, v27
	s_nop 0
	v_mov_b32_dpp v29, v25 row_shr:2 row_mask:0xf bank_mask:0xf
	v_cndmask_b32_e32 v29, 0, v29, vcc
	v_add_u32_e32 v25, v25, v29
	v_cmp_lt_u32_e32 vcc, 3, v27
	s_nop 0
	;; [unrolled: 5-line block ×3, first 2 shown]
	v_mov_b32_dpp v29, v25 row_shr:8 row_mask:0xf bank_mask:0xf
	v_cndmask_b32_e32 v27, 0, v29, vcc
	v_add_u32_e32 v25, v25, v27
	v_bfe_i32 v29, v15, 4, 1
	v_cmp_lt_u32_e32 vcc, 31, v15
	v_mov_b32_dpp v27, v25 row_bcast:15 row_mask:0xf bank_mask:0xf
	v_and_b32_e32 v27, v29, v27
	v_add_u32_e32 v25, v25, v27
	v_and_b32_e32 v29, 64, v15
	s_nop 0
	v_mov_b32_dpp v27, v25 row_bcast:31 row_mask:0xf bank_mask:0xf
	v_cndmask_b32_e32 v27, 0, v27, vcc
	v_add_u32_e32 v25, v25, v27
	v_add_u32_e32 v27, -1, v15
	v_cmp_lt_i32_e32 vcc, v27, v29
	v_cndmask_b32_e32 v15, v27, v15, vcc
	v_lshlrev_b32_e32 v15, 2, v15
	ds_bpermute_b32 v15, v15, v25
	s_waitcnt lgkmcnt(0)
	v_add_u32_e32 v15, v15, v16
	v_cndmask_b32_e64 v14, v15, v14, s[10:11]
	v_add_u32_e32 v15, v14, v17
	ds_write2_b32 v24, v14, v15 offset1:1
	v_add_u32_e32 v14, v15, v20
	v_add_u32_e32 v15, v14, v21
	ds_write2_b32 v24, v14, v15 offset0:2 offset1:3
	v_add_u32_e32 v14, v15, v32
	v_add_u32_e32 v15, v14, v33
	ds_write2_b32 v24, v14, v15 offset0:4 offset1:5
	;; [unrolled: 3-line block ×3, first 2 shown]
.LBB5_41:
	s_or_b64 exec, exec, s[8:9]
	v_add_u32_e32 v14, -1, v18
	v_lshrrev_b32_e32 v15, 5, v14
	v_add_u32_e32 v14, v15, v14
	v_lshl_add_u32 v25, v14, 2, v13
	s_waitcnt lgkmcnt(0)
	s_barrier
	s_and_saveexec_b64 s[8:9], s[24:25]
	s_cbranch_execz .LBB5_43
; %bb.42:
	ds_read_b32 v10, v25
.LBB5_43:
	s_or_b64 exec, exec, s[8:9]
	v_mov_b32_e32 v14, 0
	ds_read_b32 v16, v14 offset:18488
	s_movk_i32 s8, 0x1ff
	s_waitcnt lgkmcnt(1)
	v_add_u32_e32 v15, v10, v12
	v_bfe_u32 v13, v31, 20, 10
	v_cmp_ne_u32_e64 s[14:15], s8, v18
	s_waitcnt lgkmcnt(0)
	v_add_u32_e32 v10, v16, v12
	v_cmp_lt_i32_e32 vcc, v15, v7
	ds_write_b32 v28, v15 offset:2112
	s_waitcnt lgkmcnt(0)
	s_barrier
	s_and_saveexec_b64 s[8:9], vcc
	s_cbranch_execz .LBB5_49
; %bb.44:
	v_mov_b32_e32 v12, v10
	s_and_saveexec_b64 s[16:17], s[14:15]
	s_cbranch_execz .LBB5_46
; %bb.45:
	ds_read_b32 v12, v23 offset:4
.LBB5_46:
	s_or_b64 exec, exec, s[16:17]
	s_waitcnt lgkmcnt(0)
	v_cmp_ge_i32_e32 vcc, v12, v7
	v_mov_b32_e32 v14, 0
	s_and_saveexec_b64 s[16:17], vcc
	s_cbranch_execz .LBB5_48
; %bb.47:
	s_mov_b32 s29, 0x8000
	v_sub_u32_e32 v12, v12, v15
	v_add_u32_e64 v14, s29, 0
	ds_write2_b32 v14, v12, v18 offset0:69 offset1:71
	v_mov_b32_e32 v14, 1
.LBB5_48:
	s_or_b64 exec, exec, s[16:17]
.LBB5_49:
	s_or_b64 exec, exec, s[8:9]
	s_and_b32 s9, 0xffff, s28
	v_mul_u32_u24_e32 v11, v13, v11
	s_mul_i32 s26, s26, s9
	v_or_b32_dpp v13, v14, v14 row_shl:1 row_mask:0xf bank_mask:0xf bound_ctrl:1
	s_and_b32 s8, 0xffff, s27
	s_bfe_i32 s16, s26, 0x180000
	v_or_b32_dpp v13, v13, v13 row_shl:2 row_mask:0xf bank_mask:0xf bound_ctrl:1
	s_mul_i32 s8, s16, s8
	s_add_i32 s8, s8, 63
	v_or_b32_dpp v13, v13, v13 row_shl:4 row_mask:0xf bank_mask:0xf bound_ctrl:1
	s_andn2_b32 s8, s8, 63
	s_cmp_lg_u32 s8, 64
	v_or_b32_dpp v13, v13, v13 row_shl:8 row_mask:0xf bank_mask:0xf bound_ctrl:1
	s_cselect_b64 s[56:57], -1, 0
	s_bitcmp1_b32 exec_hi, 0
	v_mov_b32_dpp v14, v13 wave_shl:1 row_mask:0xf bank_mask:0xf bound_ctrl:1
	v_bfe_u32 v12, v31, 10, 10
	v_add_u32_e32 v11, v11, v12
	v_or_b32_dpp v13, v14, v13 row_mirror row_mask:0xf bank_mask:0xf bound_ctrl:1
	v_readlane_b32 s16, v13, 32
	s_cselect_b32 s16, s16, 0
	v_readlane_b32 s17, v13, 0
	s_or_b32 s26, s16, s17
	s_cmp_eq_u32 s8, 64
	v_mad_u64_u32 v[12:13], s[8:9], v11, s9, v[18:19]
	v_lshrrev_b32_e32 v27, 6, v12
	v_cmp_lt_u32_e64 s[16:17], 63, v12
	v_mov_b32_e32 v11, s26
	s_cbranch_scc1 .LBB5_56
; %bb.50:
	v_mbcnt_lo_u32_b32 v11, -1, 0
	v_mbcnt_hi_u32_b32 v11, -1, v11
	v_or_b32_e32 v12, v11, v27
	v_cmp_eq_u32_e32 vcc, 0, v12
	s_and_saveexec_b64 s[8:9], vcc
	s_cbranch_execz .LBB5_52
; %bb.51:
	v_mov_b32_e32 v12, 0
	v_mov_b32_e32 v13, s26
	ds_write_b32 v12, v13 offset:32768
.LBB5_52:
	s_or_b64 exec, exec, s[8:9]
	v_cmp_eq_u32_e32 vcc, 0, v11
	s_and_b64 s[28:29], s[16:17], vcc
	s_waitcnt lgkmcnt(0)
	s_barrier
	s_and_saveexec_b64 s[8:9], s[28:29]
	s_cbranch_execz .LBB5_55
; %bb.53:
	v_mbcnt_lo_u32_b32 v11, exec_lo, 0
	v_mbcnt_hi_u32_b32 v11, exec_hi, v11
	v_cmp_eq_u32_e32 vcc, 0, v11
	s_and_b64 exec, exec, vcc
	s_cbranch_execz .LBB5_55
; %bb.54:
	v_mov_b32_e32 v11, 0
	v_mov_b32_e32 v12, s26
	ds_or_b32 v11, v12 offset:32768
.LBB5_55:
	s_or_b64 exec, exec, s[8:9]
	v_mov_b32_e32 v11, 0
	s_waitcnt lgkmcnt(0)
	s_barrier
	ds_read_b32 v11, v11 offset:32768
	s_waitcnt lgkmcnt(0)
	s_barrier
.LBB5_56:
	v_cmp_eq_u32_e32 vcc, 0, v11
	s_cbranch_vccz .LBB5_110
; %bb.57:
	ds_read_b32 v11, v23 offset:2048
	s_waitcnt lgkmcnt(0)
	s_barrier
	ds_write_b32 v26, v11
	s_waitcnt lgkmcnt(0)
	s_barrier
	s_and_saveexec_b64 s[8:9], s[12:13]
	s_cbranch_execz .LBB5_59
; %bb.58:
	ds_read2_b32 v[12:13], v24 offset1:1
	ds_read2_b32 v[14:15], v24 offset0:2 offset1:3
	ds_read2_b32 v[16:17], v24 offset0:4 offset1:5
	;; [unrolled: 1-line block ×3, first 2 shown]
	v_mbcnt_lo_u32_b32 v29, -1, 0
	s_waitcnt lgkmcnt(3)
	v_add_u32_e32 v30, v13, v12
	s_waitcnt lgkmcnt(2)
	v_add3_u32 v30, v30, v14, v15
	s_waitcnt lgkmcnt(1)
	v_add3_u32 v30, v30, v16, v17
	v_mbcnt_hi_u32_b32 v29, -1, v29
	s_waitcnt lgkmcnt(0)
	v_add3_u32 v30, v30, v20, v21
	v_and_b32_e32 v31, 15, v29
	v_cmp_ne_u32_e32 vcc, 0, v31
	v_mov_b32_dpp v32, v30 row_shr:1 row_mask:0xf bank_mask:0xf
	v_cndmask_b32_e32 v32, 0, v32, vcc
	v_add_u32_e32 v30, v32, v30
	v_cmp_lt_u32_e32 vcc, 1, v31
	s_nop 0
	v_mov_b32_dpp v32, v30 row_shr:2 row_mask:0xf bank_mask:0xf
	v_cndmask_b32_e32 v32, 0, v32, vcc
	v_add_u32_e32 v30, v30, v32
	v_cmp_lt_u32_e32 vcc, 3, v31
	s_nop 0
	;; [unrolled: 5-line block ×3, first 2 shown]
	v_mov_b32_dpp v32, v30 row_shr:8 row_mask:0xf bank_mask:0xf
	v_cndmask_b32_e32 v31, 0, v32, vcc
	v_add_u32_e32 v30, v30, v31
	v_bfe_i32 v32, v29, 4, 1
	v_cmp_lt_u32_e32 vcc, 31, v29
	v_mov_b32_dpp v31, v30 row_bcast:15 row_mask:0xf bank_mask:0xf
	v_and_b32_e32 v31, v32, v31
	v_add_u32_e32 v30, v30, v31
	v_and_b32_e32 v32, 64, v29
	s_nop 0
	v_mov_b32_dpp v31, v30 row_bcast:31 row_mask:0xf bank_mask:0xf
	v_cndmask_b32_e32 v31, 0, v31, vcc
	v_add_u32_e32 v30, v30, v31
	v_add_u32_e32 v31, -1, v29
	v_cmp_lt_i32_e32 vcc, v31, v32
	v_cndmask_b32_e32 v29, v31, v29, vcc
	v_lshlrev_b32_e32 v29, 2, v29
	ds_bpermute_b32 v29, v29, v30
	s_waitcnt lgkmcnt(0)
	v_add_u32_e32 v12, v29, v12
	v_cndmask_b32_e64 v11, v12, v11, s[10:11]
	v_add_u32_e32 v12, v11, v13
	ds_write2_b32 v24, v11, v12 offset1:1
	v_add_u32_e32 v11, v12, v14
	v_add_u32_e32 v12, v11, v15
	ds_write2_b32 v24, v11, v12 offset0:2 offset1:3
	v_add_u32_e32 v11, v12, v16
	v_add_u32_e32 v12, v11, v17
	ds_write2_b32 v24, v11, v12 offset0:4 offset1:5
	;; [unrolled: 3-line block ×3, first 2 shown]
.LBB5_59:
	s_or_b64 exec, exec, s[8:9]
	v_mov_b32_e32 v11, 0
	v_mov_b32_e32 v12, 0
	s_waitcnt lgkmcnt(0)
	s_barrier
	s_and_saveexec_b64 s[8:9], s[24:25]
	s_cbranch_execz .LBB5_61
; %bb.60:
	ds_read_b32 v12, v25
.LBB5_61:
	s_or_b64 exec, exec, s[8:9]
	ds_read_b32 v13, v11 offset:18488
	s_waitcnt lgkmcnt(1)
	v_add_u32_e32 v12, v12, v10
	v_cmp_lt_i32_e32 vcc, v12, v7
	ds_write_b32 v23, v12 offset:2048
	s_waitcnt lgkmcnt(0)
	v_add_u32_e32 v10, v13, v10
	s_barrier
	s_and_saveexec_b64 s[8:9], vcc
	s_cbranch_execz .LBB5_67
; %bb.62:
	v_mov_b32_e32 v13, v10
	s_and_saveexec_b64 s[26:27], s[14:15]
	s_cbranch_execz .LBB5_64
; %bb.63:
	ds_read_b32 v13, v23 offset:2052
.LBB5_64:
	s_or_b64 exec, exec, s[26:27]
	s_waitcnt lgkmcnt(0)
	v_cmp_ge_i32_e32 vcc, v13, v7
	v_mov_b32_e32 v11, 0
	s_and_saveexec_b64 s[26:27], vcc
	s_cbranch_execz .LBB5_66
; %bb.65:
	s_mov_b32 s28, 0x8000
	v_add_u32_e32 v11, 0x200, v18
	v_sub_u32_e32 v12, v13, v12
	v_add_u32_e64 v13, s28, 0
	ds_write2_b32 v13, v12, v11 offset0:69 offset1:71
	v_mov_b32_e32 v11, 1
.LBB5_66:
	s_or_b64 exec, exec, s[26:27]
.LBB5_67:
	s_or_b64 exec, exec, s[8:9]
	v_or_b32_dpp v11, v11, v11 row_shl:1 row_mask:0xf bank_mask:0xf bound_ctrl:1
	s_bitcmp1_b32 exec_hi, 0
	s_nop 0
	v_or_b32_dpp v11, v11, v11 row_shl:2 row_mask:0xf bank_mask:0xf bound_ctrl:1
	s_nop 1
	v_or_b32_dpp v11, v11, v11 row_shl:4 row_mask:0xf bank_mask:0xf bound_ctrl:1
	s_nop 1
	v_or_b32_dpp v11, v11, v11 row_shl:8 row_mask:0xf bank_mask:0xf bound_ctrl:1
	s_nop 1
	v_mov_b32_dpp v12, v11 wave_shl:1 row_mask:0xf bank_mask:0xf bound_ctrl:1
	s_nop 1
	v_or_b32_dpp v11, v12, v11 row_mirror row_mask:0xf bank_mask:0xf bound_ctrl:1
	v_readlane_b32 s8, v11, 32
	s_cselect_b32 s8, s8, 0
	v_readlane_b32 s9, v11, 0
	s_or_b32 s28, s8, s9
	v_cndmask_b32_e64 v11, 0, 1, s[56:57]
	v_cmp_ne_u32_e64 s[8:9], 1, v11
	s_andn2_b64 vcc, exec, s[56:57]
	v_mov_b32_e32 v11, s28
	s_cbranch_vccnz .LBB5_74
; %bb.68:
	v_mbcnt_lo_u32_b32 v11, -1, 0
	v_mbcnt_hi_u32_b32 v11, -1, v11
	v_or_b32_e32 v12, v11, v27
	v_cmp_eq_u32_e32 vcc, 0, v12
	s_and_saveexec_b64 s[26:27], vcc
	s_cbranch_execz .LBB5_70
; %bb.69:
	v_mov_b32_e32 v12, 0
	v_mov_b32_e32 v13, s28
	ds_write_b32 v12, v13 offset:32768
.LBB5_70:
	s_or_b64 exec, exec, s[26:27]
	v_cmp_eq_u32_e32 vcc, 0, v11
	s_and_b64 vcc, s[16:17], vcc
	s_waitcnt lgkmcnt(0)
	s_barrier
	s_and_saveexec_b64 s[26:27], vcc
	s_cbranch_execz .LBB5_73
; %bb.71:
	v_mbcnt_lo_u32_b32 v11, exec_lo, 0
	v_mbcnt_hi_u32_b32 v11, exec_hi, v11
	v_cmp_eq_u32_e32 vcc, 0, v11
	s_and_b64 exec, exec, vcc
	s_cbranch_execz .LBB5_73
; %bb.72:
	v_mov_b32_e32 v11, 0
	v_mov_b32_e32 v12, s28
	ds_or_b32 v11, v12 offset:32768
.LBB5_73:
	s_or_b64 exec, exec, s[26:27]
	v_mov_b32_e32 v11, 0
	s_waitcnt lgkmcnt(0)
	s_barrier
	ds_read_b32 v11, v11 offset:32768
	s_waitcnt lgkmcnt(0)
	s_barrier
.LBB5_74:
	v_cmp_ne_u32_e32 vcc, 0, v11
	s_cbranch_vccnz .LBB5_110
; %bb.75:
	ds_read_b32 v11, v23 offset:4096
	s_waitcnt lgkmcnt(0)
	s_barrier
	ds_write_b32 v26, v11
	s_waitcnt lgkmcnt(0)
	s_barrier
	s_and_saveexec_b64 s[26:27], s[12:13]
	s_cbranch_execz .LBB5_77
; %bb.76:
	ds_read2_b32 v[12:13], v24 offset1:1
	ds_read2_b32 v[14:15], v24 offset0:2 offset1:3
	ds_read2_b32 v[16:17], v24 offset0:4 offset1:5
	;; [unrolled: 1-line block ×3, first 2 shown]
	v_mbcnt_lo_u32_b32 v29, -1, 0
	s_waitcnt lgkmcnt(3)
	v_add_u32_e32 v30, v13, v12
	s_waitcnt lgkmcnt(2)
	v_add3_u32 v30, v30, v14, v15
	s_waitcnt lgkmcnt(1)
	v_add3_u32 v30, v30, v16, v17
	v_mbcnt_hi_u32_b32 v29, -1, v29
	s_waitcnt lgkmcnt(0)
	v_add3_u32 v30, v30, v20, v21
	v_and_b32_e32 v31, 15, v29
	v_cmp_ne_u32_e32 vcc, 0, v31
	v_mov_b32_dpp v32, v30 row_shr:1 row_mask:0xf bank_mask:0xf
	v_cndmask_b32_e32 v32, 0, v32, vcc
	v_add_u32_e32 v30, v32, v30
	v_cmp_lt_u32_e32 vcc, 1, v31
	s_nop 0
	v_mov_b32_dpp v32, v30 row_shr:2 row_mask:0xf bank_mask:0xf
	v_cndmask_b32_e32 v32, 0, v32, vcc
	v_add_u32_e32 v30, v30, v32
	v_cmp_lt_u32_e32 vcc, 3, v31
	s_nop 0
	;; [unrolled: 5-line block ×3, first 2 shown]
	v_mov_b32_dpp v32, v30 row_shr:8 row_mask:0xf bank_mask:0xf
	v_cndmask_b32_e32 v31, 0, v32, vcc
	v_add_u32_e32 v30, v30, v31
	v_bfe_i32 v32, v29, 4, 1
	v_cmp_lt_u32_e32 vcc, 31, v29
	v_mov_b32_dpp v31, v30 row_bcast:15 row_mask:0xf bank_mask:0xf
	v_and_b32_e32 v31, v32, v31
	v_add_u32_e32 v30, v30, v31
	v_and_b32_e32 v32, 64, v29
	s_nop 0
	v_mov_b32_dpp v31, v30 row_bcast:31 row_mask:0xf bank_mask:0xf
	v_cndmask_b32_e32 v31, 0, v31, vcc
	v_add_u32_e32 v30, v30, v31
	v_add_u32_e32 v31, -1, v29
	v_cmp_lt_i32_e32 vcc, v31, v32
	v_cndmask_b32_e32 v29, v31, v29, vcc
	v_lshlrev_b32_e32 v29, 2, v29
	ds_bpermute_b32 v29, v29, v30
	s_waitcnt lgkmcnt(0)
	v_add_u32_e32 v12, v29, v12
	v_cndmask_b32_e64 v11, v12, v11, s[10:11]
	v_add_u32_e32 v12, v11, v13
	ds_write2_b32 v24, v11, v12 offset1:1
	v_add_u32_e32 v11, v12, v14
	v_add_u32_e32 v12, v11, v15
	ds_write2_b32 v24, v11, v12 offset0:2 offset1:3
	v_add_u32_e32 v11, v12, v16
	v_add_u32_e32 v12, v11, v17
	ds_write2_b32 v24, v11, v12 offset0:4 offset1:5
	;; [unrolled: 3-line block ×3, first 2 shown]
.LBB5_77:
	s_or_b64 exec, exec, s[26:27]
	v_mov_b32_e32 v11, 0
	v_mov_b32_e32 v12, 0
	s_waitcnt lgkmcnt(0)
	s_barrier
	s_and_saveexec_b64 s[26:27], s[24:25]
	s_cbranch_execz .LBB5_79
; %bb.78:
	ds_read_b32 v12, v25
.LBB5_79:
	s_or_b64 exec, exec, s[26:27]
	ds_read_b32 v13, v11 offset:18488
	s_waitcnt lgkmcnt(1)
	v_add_u32_e32 v12, v12, v10
	v_cmp_lt_i32_e32 vcc, v12, v7
	ds_write_b32 v23, v12 offset:4096
	s_waitcnt lgkmcnt(0)
	v_add_u32_e32 v10, v13, v10
	s_barrier
	s_and_saveexec_b64 s[26:27], vcc
	s_cbranch_execz .LBB5_85
; %bb.80:
	v_mov_b32_e32 v13, v10
	s_and_saveexec_b64 s[28:29], s[14:15]
	s_cbranch_execz .LBB5_82
; %bb.81:
	ds_read_b32 v13, v23 offset:4100
.LBB5_82:
	s_or_b64 exec, exec, s[28:29]
	s_waitcnt lgkmcnt(0)
	v_cmp_ge_i32_e32 vcc, v13, v7
	v_mov_b32_e32 v11, 0
	s_and_saveexec_b64 s[28:29], vcc
	s_cbranch_execz .LBB5_84
; %bb.83:
	s_mov_b32 vcc_lo, 0x8000
	v_or_b32_e32 v11, 0x400, v18
	v_sub_u32_e32 v12, v13, v12
	v_add_u32_e64 v13, vcc_lo, 0
	ds_write2_b32 v13, v12, v11 offset0:69 offset1:71
	v_mov_b32_e32 v11, 1
.LBB5_84:
	s_or_b64 exec, exec, s[28:29]
.LBB5_85:
	s_or_b64 exec, exec, s[26:27]
	v_or_b32_dpp v11, v11, v11 row_shl:1 row_mask:0xf bank_mask:0xf bound_ctrl:1
	s_bitcmp1_b32 exec_hi, 0
	s_nop 0
	v_or_b32_dpp v11, v11, v11 row_shl:2 row_mask:0xf bank_mask:0xf bound_ctrl:1
	s_nop 1
	v_or_b32_dpp v11, v11, v11 row_shl:4 row_mask:0xf bank_mask:0xf bound_ctrl:1
	;; [unrolled: 2-line block ×3, first 2 shown]
	s_nop 1
	v_mov_b32_dpp v12, v11 wave_shl:1 row_mask:0xf bank_mask:0xf bound_ctrl:1
	s_nop 1
	v_or_b32_dpp v11, v12, v11 row_mirror row_mask:0xf bank_mask:0xf bound_ctrl:1
	v_readlane_b32 s26, v11, 32
	s_cselect_b32 s26, s26, 0
	v_readlane_b32 s27, v11, 0
	s_or_b32 s28, s26, s27
	s_and_b64 vcc, exec, s[8:9]
	v_mov_b32_e32 v11, s28
	s_cbranch_vccnz .LBB5_92
; %bb.86:
	v_mbcnt_lo_u32_b32 v11, -1, 0
	v_mbcnt_hi_u32_b32 v11, -1, v11
	v_or_b32_e32 v12, v11, v27
	v_cmp_eq_u32_e32 vcc, 0, v12
	s_and_saveexec_b64 s[26:27], vcc
	s_cbranch_execz .LBB5_88
; %bb.87:
	v_mov_b32_e32 v12, 0
	v_mov_b32_e32 v13, s28
	ds_write_b32 v12, v13 offset:32768
.LBB5_88:
	s_or_b64 exec, exec, s[26:27]
	v_cmp_eq_u32_e32 vcc, 0, v11
	s_and_b64 vcc, s[16:17], vcc
	s_waitcnt lgkmcnt(0)
	s_barrier
	s_and_saveexec_b64 s[26:27], vcc
	s_cbranch_execz .LBB5_91
; %bb.89:
	v_mbcnt_lo_u32_b32 v11, exec_lo, 0
	v_mbcnt_hi_u32_b32 v11, exec_hi, v11
	v_cmp_eq_u32_e32 vcc, 0, v11
	s_and_b64 exec, exec, vcc
	s_cbranch_execz .LBB5_91
; %bb.90:
	v_mov_b32_e32 v11, 0
	v_mov_b32_e32 v12, s28
	ds_or_b32 v11, v12 offset:32768
.LBB5_91:
	s_or_b64 exec, exec, s[26:27]
	v_mov_b32_e32 v11, 0
	s_waitcnt lgkmcnt(0)
	s_barrier
	ds_read_b32 v11, v11 offset:32768
	s_waitcnt lgkmcnt(0)
	s_barrier
.LBB5_92:
	v_cmp_ne_u32_e32 vcc, 0, v11
	s_cbranch_vccnz .LBB5_110
; %bb.93:
	ds_read_b32 v11, v23 offset:6144
	s_waitcnt lgkmcnt(0)
	s_barrier
	ds_write_b32 v26, v11
	s_waitcnt lgkmcnt(0)
	s_barrier
	s_and_saveexec_b64 s[26:27], s[12:13]
	s_cbranch_execz .LBB5_95
; %bb.94:
	ds_read2_b32 v[12:13], v24 offset1:1
	ds_read2_b32 v[14:15], v24 offset0:2 offset1:3
	ds_read2_b32 v[16:17], v24 offset0:4 offset1:5
	;; [unrolled: 1-line block ×3, first 2 shown]
	v_mbcnt_lo_u32_b32 v29, -1, 0
	s_waitcnt lgkmcnt(3)
	v_add_u32_e32 v30, v13, v12
	s_waitcnt lgkmcnt(2)
	v_add3_u32 v30, v30, v14, v15
	s_waitcnt lgkmcnt(1)
	v_add3_u32 v30, v30, v16, v17
	v_mbcnt_hi_u32_b32 v29, -1, v29
	s_waitcnt lgkmcnt(0)
	v_add3_u32 v30, v30, v20, v21
	v_and_b32_e32 v31, 15, v29
	v_cmp_ne_u32_e32 vcc, 0, v31
	v_mov_b32_dpp v32, v30 row_shr:1 row_mask:0xf bank_mask:0xf
	v_cndmask_b32_e32 v32, 0, v32, vcc
	v_add_u32_e32 v30, v32, v30
	v_cmp_lt_u32_e32 vcc, 1, v31
	s_nop 0
	v_mov_b32_dpp v32, v30 row_shr:2 row_mask:0xf bank_mask:0xf
	v_cndmask_b32_e32 v32, 0, v32, vcc
	v_add_u32_e32 v30, v30, v32
	v_cmp_lt_u32_e32 vcc, 3, v31
	s_nop 0
	;; [unrolled: 5-line block ×3, first 2 shown]
	v_mov_b32_dpp v32, v30 row_shr:8 row_mask:0xf bank_mask:0xf
	v_cndmask_b32_e32 v31, 0, v32, vcc
	v_add_u32_e32 v30, v30, v31
	v_bfe_i32 v32, v29, 4, 1
	v_cmp_lt_u32_e32 vcc, 31, v29
	v_mov_b32_dpp v31, v30 row_bcast:15 row_mask:0xf bank_mask:0xf
	v_and_b32_e32 v31, v32, v31
	v_add_u32_e32 v30, v30, v31
	v_and_b32_e32 v32, 64, v29
	s_nop 0
	v_mov_b32_dpp v31, v30 row_bcast:31 row_mask:0xf bank_mask:0xf
	v_cndmask_b32_e32 v31, 0, v31, vcc
	v_add_u32_e32 v30, v30, v31
	v_add_u32_e32 v31, -1, v29
	v_cmp_lt_i32_e32 vcc, v31, v32
	v_cndmask_b32_e32 v29, v31, v29, vcc
	v_lshlrev_b32_e32 v29, 2, v29
	ds_bpermute_b32 v29, v29, v30
	s_waitcnt lgkmcnt(0)
	v_add_u32_e32 v12, v29, v12
	v_cndmask_b32_e64 v11, v12, v11, s[10:11]
	v_add_u32_e32 v12, v11, v13
	ds_write2_b32 v24, v11, v12 offset1:1
	v_add_u32_e32 v11, v12, v14
	v_add_u32_e32 v12, v11, v15
	ds_write2_b32 v24, v11, v12 offset0:2 offset1:3
	v_add_u32_e32 v11, v12, v16
	v_add_u32_e32 v12, v11, v17
	ds_write2_b32 v24, v11, v12 offset0:4 offset1:5
	;; [unrolled: 3-line block ×3, first 2 shown]
.LBB5_95:
	s_or_b64 exec, exec, s[26:27]
	v_mov_b32_e32 v11, 0
	v_mov_b32_e32 v12, 0
	s_waitcnt lgkmcnt(0)
	s_barrier
	s_and_saveexec_b64 s[26:27], s[24:25]
	s_cbranch_execz .LBB5_97
; %bb.96:
	ds_read_b32 v12, v25
.LBB5_97:
	s_or_b64 exec, exec, s[26:27]
	ds_read_b32 v13, v11 offset:18488
	s_waitcnt lgkmcnt(1)
	v_add_u32_e32 v12, v12, v10
	v_cmp_lt_i32_e32 vcc, v12, v7
	ds_write_b32 v23, v12 offset:6144
	s_waitcnt lgkmcnt(0)
	s_barrier
	s_and_saveexec_b64 s[26:27], vcc
	s_cbranch_execz .LBB5_103
; %bb.98:
	v_add_u32_e32 v10, v13, v10
	s_and_saveexec_b64 s[28:29], s[14:15]
	s_cbranch_execz .LBB5_100
; %bb.99:
	ds_read_b32 v10, v23 offset:6148
.LBB5_100:
	s_or_b64 exec, exec, s[28:29]
	s_waitcnt lgkmcnt(0)
	v_cmp_ge_i32_e32 vcc, v10, v7
	v_mov_b32_e32 v11, 0
	s_and_saveexec_b64 s[28:29], vcc
	s_cbranch_execz .LBB5_102
; %bb.101:
	s_mov_b32 vcc_lo, 0x8000
	v_add_u32_e32 v11, 0x600, v18
	v_sub_u32_e32 v10, v10, v12
	v_add_u32_e64 v12, vcc_lo, 0
	ds_write2_b32 v12, v10, v11 offset0:69 offset1:71
	v_mov_b32_e32 v11, 1
.LBB5_102:
	s_or_b64 exec, exec, s[28:29]
.LBB5_103:
	s_or_b64 exec, exec, s[26:27]
	v_or_b32_dpp v10, v11, v11 row_shl:1 row_mask:0xf bank_mask:0xf bound_ctrl:1
	s_and_b64 vcc, exec, s[8:9]
	s_nop 0
	v_or_b32_dpp v10, v10, v10 row_shl:2 row_mask:0xf bank_mask:0xf bound_ctrl:1
	s_nop 1
	v_or_b32_dpp v10, v10, v10 row_shl:4 row_mask:0xf bank_mask:0xf bound_ctrl:1
	;; [unrolled: 2-line block ×3, first 2 shown]
	s_nop 1
	v_mov_b32_dpp v11, v10 wave_shl:1 row_mask:0xf bank_mask:0xf bound_ctrl:1
	s_nop 1
	v_or_b32_dpp v10, v11, v10 row_mirror row_mask:0xf bank_mask:0xf bound_ctrl:1
	v_readlane_b32 s26, v10, 32
	v_readlane_b32 s8, v10, 0
	s_cbranch_vccnz .LBB5_110
; %bb.104:
	v_mbcnt_lo_u32_b32 v10, -1, 0
	s_bitcmp1_b32 exec_hi, 0
	v_mbcnt_hi_u32_b32 v10, -1, v10
	s_cselect_b32 s9, s26, 0
	v_or_b32_e32 v11, v10, v27
	s_or_b32 s26, s9, s8
	v_cmp_eq_u32_e32 vcc, 0, v11
	s_and_saveexec_b64 s[8:9], vcc
	s_cbranch_execz .LBB5_106
; %bb.105:
	v_mov_b32_e32 v11, 0
	v_mov_b32_e32 v12, s26
	ds_write_b32 v11, v12 offset:32768
.LBB5_106:
	s_or_b64 exec, exec, s[8:9]
	v_cmp_eq_u32_e32 vcc, 0, v10
	s_and_b64 s[28:29], s[16:17], vcc
	s_waitcnt lgkmcnt(0)
	s_barrier
	s_and_saveexec_b64 s[8:9], s[28:29]
	s_cbranch_execz .LBB5_109
; %bb.107:
	v_mbcnt_lo_u32_b32 v10, exec_lo, 0
	v_mbcnt_hi_u32_b32 v10, exec_hi, v10
	v_cmp_eq_u32_e32 vcc, 0, v10
	s_and_b64 exec, exec, vcc
	s_cbranch_execz .LBB5_109
; %bb.108:
	v_mov_b32_e32 v10, 0
	v_mov_b32_e32 v11, s26
	ds_or_b32 v10, v11 offset:32768
.LBB5_109:
	s_or_b64 exec, exec, s[8:9]
	v_mov_b32_e32 v10, 0
	s_waitcnt lgkmcnt(0)
	s_barrier
	ds_read_b32 v10, v10 offset:32768
	s_waitcnt lgkmcnt(0)
	s_barrier
.LBB5_110:
	v_mov_b32_e32 v10, 0
	s_waitcnt lgkmcnt(0)
	s_barrier
	ds_read_b32 v29, v10 offset:33052
	s_and_saveexec_b64 s[8:9], s[6:7]
	s_xor_b64 s[8:9], exec, s[8:9]
	s_cbranch_execz .LBB5_123
; %bb.111:
	v_add_u32_e32 v12, v18, v2
	v_cmp_lt_i32_e32 vcc, v12, v8
	s_and_saveexec_b64 s[26:27], vcc
	s_cbranch_execz .LBB5_122
; %bb.112:
	v_mov_b32_e32 v13, 0
	ds_read_b32 v11, v13 offset:33044
	v_mul_lo_u32 v10, v6, v12
	v_lshlrev_b32_e32 v14, 9, v6
	s_mov_b64 s[34:35], 0
	s_waitcnt lgkmcnt(0)
	v_readfirstlane_b32 s28, v11
	s_cmpk_lt_i32 s28, 0x801
	s_cselect_b64 s[28:29], -1, 0
	s_ashr_i32 s53, s52, 31
	s_getpc_b64 vcc
	s_add_u32 vcc_lo, vcc_lo, llvm.amdgcn.dynlds.offset.table@rel32@lo+4
	s_addc_u32 vcc_hi, vcc_hi, llvm.amdgcn.dynlds.offset.table@rel32@hi+12
	s_lshl_b64 s[30:31], s[52:53], 2
	s_add_u32 s30, s30, vcc_lo
	s_addc_u32 s31, s31, vcc_hi
	s_branch .LBB5_115
.LBB5_113:                              ;   in Loop: Header=BB5_115 Depth=1
	s_or_b64 exec, exec, s[38:39]
	s_waitcnt lgkmcnt(0)
	v_readfirstlane_b32 vcc_lo, v16
	v_add_lshl_u32 v15, vcc_lo, v15, 2
	ds_write2st64_b32 v15, v12, v11 offset0:64 offset1:96
.LBB5_114:                              ;   in Loop: Header=BB5_115 Depth=1
	s_or_b64 exec, exec, s[36:37]
	v_add_u32_e32 v12, 0x200, v12
	v_cmp_ge_i32_e32 vcc, v12, v8
	s_or_b64 s[34:35], vcc, s[34:35]
	v_add_u32_e32 v10, v10, v14
	s_andn2_b64 exec, exec, s[34:35]
	s_cbranch_execz .LBB5_122
.LBB5_115:                              ; =>This Inner Loop Header: Depth=1
	v_ashrrev_i32_e32 v11, 31, v10
	v_lshlrev_b64 v[16:17], 2, v[10:11]
	v_add_co_u32_e32 v16, vcc, v0, v16
	v_addc_co_u32_e32 v17, vcc, v1, v17, vcc
	flat_load_dword v11, v[16:17]
	s_waitcnt vmcnt(0) lgkmcnt(0)
	v_cvt_f16_f32_e32 v15, v11
	v_xor_b32_e32 v16, -1, v15
	v_and_b32_e32 v16, 0x7fe0, v16
	v_cmp_gt_i16_e32 vcc, 0, v15
	v_cndmask_b32_e32 v15, v16, v15, vcc
	v_lshrrev_b16_e32 v15, 5, v15
	v_cmp_gt_u32_e32 vcc, v29, v15
	s_and_b64 vcc, vcc, s[28:29]
	s_and_saveexec_b64 s[36:37], vcc
	s_cbranch_execz .LBB5_119
; %bb.116:                              ;   in Loop: Header=BB5_115 Depth=1
	s_mov_b64 s[40:41], exec
	v_mbcnt_lo_u32_b32 v16, s40, 0
	v_mbcnt_hi_u32_b32 v16, s41, v16
	v_cmp_eq_u32_e32 vcc, 0, v16
                                        ; implicit-def: $vgpr17
	s_and_saveexec_b64 s[38:39], vcc
	s_cbranch_execz .LBB5_118
; %bb.117:                              ;   in Loop: Header=BB5_115 Depth=1
	s_bcnt1_i32_b64 vcc_lo, s[40:41]
	v_mov_b32_e32 v17, vcc_lo
	ds_add_rtn_u32 v17, v13, v17 offset:33048
.LBB5_118:                              ;   in Loop: Header=BB5_115 Depth=1
	s_or_b64 exec, exec, s[38:39]
	s_load_dword vcc_lo, s[30:31], 0x0
	s_waitcnt lgkmcnt(0)
	v_readfirstlane_b32 vcc_hi, v17
	v_add_u32_e32 v16, vcc_hi, v16
	v_lshl_add_u32 v16, v16, 2, vcc_lo
	ds_write_b32 v16, v12
.LBB5_119:                              ;   in Loop: Header=BB5_115 Depth=1
	s_or_b64 exec, exec, s[36:37]
	v_cmp_eq_u32_e32 vcc, v29, v15
	s_and_b64 vcc, vcc, s[28:29]
	s_and_saveexec_b64 s[36:37], vcc
	s_cbranch_execz .LBB5_114
; %bb.120:                              ;   in Loop: Header=BB5_115 Depth=1
	s_mov_b64 s[40:41], exec
	v_mbcnt_lo_u32_b32 v15, s40, 0
	v_mbcnt_hi_u32_b32 v15, s41, v15
	v_cmp_eq_u32_e32 vcc, 0, v15
                                        ; implicit-def: $vgpr16
	s_and_saveexec_b64 s[38:39], vcc
	s_cbranch_execz .LBB5_113
; %bb.121:                              ;   in Loop: Header=BB5_115 Depth=1
	s_bcnt1_i32_b64 vcc_lo, s[40:41]
	v_mov_b32_e32 v16, vcc_lo
	ds_add_rtn_u32 v16, v13, v16 offset:33040
	s_branch .LBB5_113
.LBB5_122:
	s_or_b64 exec, exec, s[26:27]
.LBB5_123:
	s_andn2_saveexec_b64 s[26:27], s[8:9]
	s_cbranch_execz .LBB5_178
; %bb.124:
	v_lshlrev_b64 v[10:11], 2, v[2:3]
	v_add_co_u32_e32 v30, vcc, v0, v10
	v_and_b32_e32 v16, 15, v30
	v_mov_b32_e32 v17, 0
	v_addc_co_u32_e32 v31, vcc, v1, v11, vcc
	v_sub_u32_e32 v12, 16, v16
	v_lshrrev_b32_e32 v12, 2, v12
	v_cmp_ne_u64_e32 vcc, 0, v[16:17]
	v_cndmask_b32_e32 v12, 0, v12, vcc
	v_min_i32_e32 v14, v12, v22
	v_sub_u32_e32 v12, v22, v14
	v_ashrrev_i32_e32 v13, 31, v12
	v_lshrrev_b32_e32 v13, 30, v13
	v_add_u32_e32 v12, v12, v13
	v_ashrrev_i32_e32 v16, 2, v12
	s_mov_b64 s[28:29], 0
	v_ashrrev_i32_e32 v15, 31, v14
	v_cmp_gt_i32_e32 vcc, v16, v18
	s_and_saveexec_b64 s[30:31], vcc
	s_cbranch_execz .LBB5_159
; %bb.125:
	ds_read_b32 v12, v17 offset:33044
	v_lshlrev_b32_e32 v20, 4, v18
	v_lshl_add_u32 v32, v18, 2, v14
	s_waitcnt lgkmcnt(0)
	v_readfirstlane_b32 s8, v12
	s_cmpk_lt_i32 s8, 0x801
	s_cselect_b64 s[34:35], -1, 0
	s_cmpk_gt_i32 s8, 0x800
	s_cselect_b64 s[8:9], -1, 0
	s_ashr_i32 s53, s52, 31
	s_getpc_b64 vcc
	s_add_u32 vcc_lo, vcc_lo, llvm.amdgcn.dynlds.offset.table@rel32@lo+4
	s_addc_u32 vcc_hi, vcc_hi, llvm.amdgcn.dynlds.offset.table@rel32@hi+12
	s_lshl_b64 s[36:37], s[52:53], 2
	s_add_u32 s36, s36, vcc_lo
	v_lshlrev_b64 v[12:13], 2, v[14:15]
	s_addc_u32 s37, s37, vcc_hi
	v_add_co_u32_e32 v12, vcc, v20, v12
	v_addc_co_u32_e32 v13, vcc, 0, v13, vcc
	v_add_co_u32_e32 v10, vcc, v12, v10
	v_addc_co_u32_e32 v11, vcc, v13, v11, vcc
	v_add_co_u32_e32 v20, vcc, v0, v10
	v_addc_co_u32_e32 v21, vcc, v1, v11, vcc
	s_xor_b64 s[38:39], s[8:9], -1
	v_mov_b32_e32 v15, v18
	s_branch .LBB5_128
.LBB5_126:                              ;   in Loop: Header=BB5_128 Depth=1
	s_or_b64 exec, exec, s[40:41]
	s_waitcnt lgkmcnt(0)
	v_readfirstlane_b32 vcc_lo, v12
	v_add_lshl_u32 v11, vcc_lo, v11, 2
	ds_write2st64_b32 v11, v10, v13 offset0:64 offset1:96
.LBB5_127:                              ;   in Loop: Header=BB5_128 Depth=1
	s_or_b64 exec, exec, s[8:9]
	v_add_u32_e32 v15, 0x200, v15
	v_add_co_u32_e32 v20, vcc, 0x2000, v20
	v_cmp_ge_i32_e64 s[8:9], v15, v16
	v_add_u32_e32 v32, 0x800, v32
	s_or_b64 s[28:29], s[8:9], s[28:29]
	v_addc_co_u32_e32 v21, vcc, 0, v21, vcc
	s_andn2_b64 exec, exec, s[28:29]
	s_cbranch_execz .LBB5_159
.LBB5_128:                              ; =>This Inner Loop Header: Depth=1
	flat_load_dwordx4 v[10:13], v[20:21]
	s_waitcnt vmcnt(0) lgkmcnt(0)
	v_cvt_f16_f32_e32 v33, v10
	v_xor_b32_e32 v34, -1, v33
	v_and_b32_e32 v34, 0x7fe0, v34
	v_cmp_gt_i16_e32 vcc, 0, v33
	v_cndmask_b32_e32 v33, v34, v33, vcc
	v_lshrrev_b16_e32 v33, 5, v33
	v_cmp_gt_u32_e32 vcc, v29, v33
	s_and_b64 vcc, vcc, s[34:35]
	s_and_saveexec_b64 s[8:9], vcc
	s_cbranch_execz .LBB5_132
; %bb.129:                              ;   in Loop: Header=BB5_128 Depth=1
	s_mov_b64 s[42:43], exec
	v_mbcnt_lo_u32_b32 v34, s42, 0
	v_mbcnt_hi_u32_b32 v34, s43, v34
	v_cmp_eq_u32_e32 vcc, 0, v34
                                        ; implicit-def: $vgpr35
	s_and_saveexec_b64 s[40:41], vcc
	s_cbranch_execz .LBB5_131
; %bb.130:                              ;   in Loop: Header=BB5_128 Depth=1
	s_bcnt1_i32_b64 vcc_lo, s[42:43]
	v_mov_b32_e32 v35, vcc_lo
	ds_add_rtn_u32 v35, v17, v35 offset:33048
.LBB5_131:                              ;   in Loop: Header=BB5_128 Depth=1
	s_or_b64 exec, exec, s[40:41]
	s_load_dword vcc_lo, s[36:37], 0x0
	s_waitcnt lgkmcnt(0)
	v_readfirstlane_b32 vcc_hi, v35
	v_add_u32_e32 v34, vcc_hi, v34
	v_lshl_add_u32 v34, v34, 2, vcc_lo
	ds_write_b32 v34, v32
.LBB5_132:                              ;   in Loop: Header=BB5_128 Depth=1
	s_or_b64 exec, exec, s[8:9]
	v_cmp_eq_u32_e32 vcc, v29, v33
	s_and_b64 vcc, vcc, s[38:39]
	s_and_saveexec_b64 s[8:9], vcc
	s_cbranch_execz .LBB5_136
; %bb.133:                              ;   in Loop: Header=BB5_128 Depth=1
	s_mov_b64 s[42:43], exec
	v_mbcnt_lo_u32_b32 v33, s42, 0
	v_mbcnt_hi_u32_b32 v33, s43, v33
	v_cmp_eq_u32_e32 vcc, 0, v33
                                        ; implicit-def: $vgpr34
	s_and_saveexec_b64 s[40:41], vcc
	s_cbranch_execz .LBB5_135
; %bb.134:                              ;   in Loop: Header=BB5_128 Depth=1
	s_bcnt1_i32_b64 vcc_lo, s[42:43]
	v_mov_b32_e32 v34, vcc_lo
	ds_add_rtn_u32 v34, v17, v34 offset:33040
.LBB5_135:                              ;   in Loop: Header=BB5_128 Depth=1
	s_or_b64 exec, exec, s[40:41]
	s_waitcnt lgkmcnt(0)
	v_readfirstlane_b32 vcc_lo, v34
	v_add_lshl_u32 v33, vcc_lo, v33, 2
	ds_write2st64_b32 v33, v32, v10 offset0:64 offset1:96
.LBB5_136:                              ;   in Loop: Header=BB5_128 Depth=1
	s_or_b64 exec, exec, s[8:9]
	v_cvt_f16_f32_e32 v33, v11
	v_add_u32_e32 v10, 1, v32
	v_xor_b32_e32 v34, -1, v33
	v_and_b32_e32 v34, 0x7fe0, v34
	v_cmp_gt_i16_e32 vcc, 0, v33
	v_cndmask_b32_e32 v33, v34, v33, vcc
	v_lshrrev_b16_e32 v33, 5, v33
	v_cmp_gt_u32_e32 vcc, v29, v33
	s_and_b64 vcc, vcc, s[34:35]
	s_and_saveexec_b64 s[8:9], vcc
	s_cbranch_execz .LBB5_140
; %bb.137:                              ;   in Loop: Header=BB5_128 Depth=1
	s_mov_b64 s[42:43], exec
	v_mbcnt_lo_u32_b32 v34, s42, 0
	v_mbcnt_hi_u32_b32 v34, s43, v34
	v_cmp_eq_u32_e32 vcc, 0, v34
                                        ; implicit-def: $vgpr35
	s_and_saveexec_b64 s[40:41], vcc
	s_cbranch_execz .LBB5_139
; %bb.138:                              ;   in Loop: Header=BB5_128 Depth=1
	s_bcnt1_i32_b64 vcc_lo, s[42:43]
	v_mov_b32_e32 v35, vcc_lo
	ds_add_rtn_u32 v35, v17, v35 offset:33048
.LBB5_139:                              ;   in Loop: Header=BB5_128 Depth=1
	s_or_b64 exec, exec, s[40:41]
	s_load_dword vcc_lo, s[36:37], 0x0
	s_waitcnt lgkmcnt(0)
	v_readfirstlane_b32 vcc_hi, v35
	v_add_u32_e32 v34, vcc_hi, v34
	v_lshl_add_u32 v34, v34, 2, vcc_lo
	ds_write_b32 v34, v10
.LBB5_140:                              ;   in Loop: Header=BB5_128 Depth=1
	s_or_b64 exec, exec, s[8:9]
	v_cmp_eq_u32_e32 vcc, v29, v33
	s_and_b64 vcc, vcc, s[38:39]
	s_and_saveexec_b64 s[8:9], vcc
	s_cbranch_execz .LBB5_144
; %bb.141:                              ;   in Loop: Header=BB5_128 Depth=1
	s_mov_b64 s[42:43], exec
	v_mbcnt_lo_u32_b32 v33, s42, 0
	v_mbcnt_hi_u32_b32 v33, s43, v33
	v_cmp_eq_u32_e32 vcc, 0, v33
                                        ; implicit-def: $vgpr34
	s_and_saveexec_b64 s[40:41], vcc
	s_cbranch_execz .LBB5_143
; %bb.142:                              ;   in Loop: Header=BB5_128 Depth=1
	s_bcnt1_i32_b64 vcc_lo, s[42:43]
	v_mov_b32_e32 v34, vcc_lo
	ds_add_rtn_u32 v34, v17, v34 offset:33040
.LBB5_143:                              ;   in Loop: Header=BB5_128 Depth=1
	s_or_b64 exec, exec, s[40:41]
	s_waitcnt lgkmcnt(0)
	v_readfirstlane_b32 vcc_lo, v34
	v_add_lshl_u32 v33, vcc_lo, v33, 2
	ds_write2st64_b32 v33, v10, v11 offset0:64 offset1:96
.LBB5_144:                              ;   in Loop: Header=BB5_128 Depth=1
	s_or_b64 exec, exec, s[8:9]
	v_cvt_f16_f32_e32 v11, v12
	v_add_u32_e32 v10, 2, v32
	v_xor_b32_e32 v33, -1, v11
	v_and_b32_e32 v33, 0x7fe0, v33
	v_cmp_gt_i16_e32 vcc, 0, v11
	v_cndmask_b32_e32 v11, v33, v11, vcc
	v_lshrrev_b16_e32 v11, 5, v11
	v_cmp_gt_u32_e32 vcc, v29, v11
	s_and_b64 vcc, vcc, s[34:35]
	s_and_saveexec_b64 s[8:9], vcc
	s_cbranch_execz .LBB5_148
; %bb.145:                              ;   in Loop: Header=BB5_128 Depth=1
	s_mov_b64 s[42:43], exec
	v_mbcnt_lo_u32_b32 v33, s42, 0
	v_mbcnt_hi_u32_b32 v33, s43, v33
	v_cmp_eq_u32_e32 vcc, 0, v33
                                        ; implicit-def: $vgpr34
	s_and_saveexec_b64 s[40:41], vcc
	s_cbranch_execz .LBB5_147
; %bb.146:                              ;   in Loop: Header=BB5_128 Depth=1
	s_bcnt1_i32_b64 vcc_lo, s[42:43]
	v_mov_b32_e32 v34, vcc_lo
	ds_add_rtn_u32 v34, v17, v34 offset:33048
.LBB5_147:                              ;   in Loop: Header=BB5_128 Depth=1
	s_or_b64 exec, exec, s[40:41]
	s_load_dword vcc_lo, s[36:37], 0x0
	s_waitcnt lgkmcnt(0)
	v_readfirstlane_b32 vcc_hi, v34
	v_add_u32_e32 v33, vcc_hi, v33
	v_lshl_add_u32 v33, v33, 2, vcc_lo
	ds_write_b32 v33, v10
.LBB5_148:                              ;   in Loop: Header=BB5_128 Depth=1
	s_or_b64 exec, exec, s[8:9]
	v_cmp_eq_u32_e32 vcc, v29, v11
	s_and_b64 vcc, vcc, s[38:39]
	s_and_saveexec_b64 s[8:9], vcc
	s_cbranch_execz .LBB5_152
; %bb.149:                              ;   in Loop: Header=BB5_128 Depth=1
	s_mov_b64 s[42:43], exec
	v_mbcnt_lo_u32_b32 v11, s42, 0
	v_mbcnt_hi_u32_b32 v11, s43, v11
	v_cmp_eq_u32_e32 vcc, 0, v11
                                        ; implicit-def: $vgpr33
	s_and_saveexec_b64 s[40:41], vcc
	s_cbranch_execz .LBB5_151
; %bb.150:                              ;   in Loop: Header=BB5_128 Depth=1
	s_bcnt1_i32_b64 vcc_lo, s[42:43]
	v_mov_b32_e32 v33, vcc_lo
	ds_add_rtn_u32 v33, v17, v33 offset:33040
.LBB5_151:                              ;   in Loop: Header=BB5_128 Depth=1
	s_or_b64 exec, exec, s[40:41]
	s_waitcnt lgkmcnt(0)
	v_readfirstlane_b32 vcc_lo, v33
	v_add_lshl_u32 v11, vcc_lo, v11, 2
	ds_write2st64_b32 v11, v10, v12 offset0:64 offset1:96
.LBB5_152:                              ;   in Loop: Header=BB5_128 Depth=1
	s_or_b64 exec, exec, s[8:9]
	v_cvt_f16_f32_e32 v11, v13
	v_add_u32_e32 v10, 3, v32
	v_xor_b32_e32 v12, -1, v11
	v_and_b32_e32 v12, 0x7fe0, v12
	v_cmp_gt_i16_e32 vcc, 0, v11
	v_cndmask_b32_e32 v11, v12, v11, vcc
	v_lshrrev_b16_e32 v11, 5, v11
	v_cmp_gt_u32_e32 vcc, v29, v11
	s_and_b64 vcc, vcc, s[34:35]
	s_and_saveexec_b64 s[8:9], vcc
	s_cbranch_execz .LBB5_156
; %bb.153:                              ;   in Loop: Header=BB5_128 Depth=1
	s_mov_b64 s[42:43], exec
	v_mbcnt_lo_u32_b32 v12, s42, 0
	v_mbcnt_hi_u32_b32 v12, s43, v12
	v_cmp_eq_u32_e32 vcc, 0, v12
                                        ; implicit-def: $vgpr33
	s_and_saveexec_b64 s[40:41], vcc
	s_cbranch_execz .LBB5_155
; %bb.154:                              ;   in Loop: Header=BB5_128 Depth=1
	s_bcnt1_i32_b64 vcc_lo, s[42:43]
	v_mov_b32_e32 v33, vcc_lo
	ds_add_rtn_u32 v33, v17, v33 offset:33048
.LBB5_155:                              ;   in Loop: Header=BB5_128 Depth=1
	s_or_b64 exec, exec, s[40:41]
	s_load_dword vcc_lo, s[36:37], 0x0
	s_waitcnt lgkmcnt(0)
	v_readfirstlane_b32 vcc_hi, v33
	v_add_u32_e32 v12, vcc_hi, v12
	v_lshl_add_u32 v12, v12, 2, vcc_lo
	ds_write_b32 v12, v10
.LBB5_156:                              ;   in Loop: Header=BB5_128 Depth=1
	s_or_b64 exec, exec, s[8:9]
	v_cmp_eq_u32_e32 vcc, v29, v11
	s_and_b64 vcc, vcc, s[34:35]
	s_and_saveexec_b64 s[8:9], vcc
	s_cbranch_execz .LBB5_127
; %bb.157:                              ;   in Loop: Header=BB5_128 Depth=1
	s_mov_b64 s[42:43], exec
	v_mbcnt_lo_u32_b32 v11, s42, 0
	v_mbcnt_hi_u32_b32 v11, s43, v11
	v_cmp_eq_u32_e32 vcc, 0, v11
                                        ; implicit-def: $vgpr12
	s_and_saveexec_b64 s[40:41], vcc
	s_cbranch_execz .LBB5_126
; %bb.158:                              ;   in Loop: Header=BB5_128 Depth=1
	s_bcnt1_i32_b64 vcc_lo, s[42:43]
	v_mov_b32_e32 v12, vcc_lo
	ds_add_rtn_u32 v12, v17, v12 offset:33040
	s_branch .LBB5_126
.LBB5_159:
	s_or_b64 exec, exec, s[30:31]
	v_cmp_gt_u32_e32 vcc, v14, v18
	s_and_saveexec_b64 s[8:9], vcc
	s_cbranch_execz .LBB5_168
; %bb.160:
	v_add_co_u32_e32 v10, vcc, v30, v19
	v_addc_co_u32_e32 v11, vcc, 0, v31, vcc
	flat_load_dword v10, v[10:11]
	v_mov_b32_e32 v11, 0
	ds_read_b32 v11, v11 offset:33044
	s_waitcnt lgkmcnt(0)
	v_readfirstlane_b32 s28, v11
	s_cmpk_lt_i32 s28, 0x801
	s_cselect_b64 s[28:29], -1, 0
	s_waitcnt vmcnt(0)
	v_cvt_f16_f32_e32 v12, v10
	v_xor_b32_e32 v11, -1, v12
	v_and_b32_e32 v11, 0x7fe0, v11
	v_cmp_gt_i16_e32 vcc, 0, v12
	v_cndmask_b32_e32 v11, v11, v12, vcc
	v_lshrrev_b16_e32 v11, 5, v11
	v_cmp_gt_u32_e32 vcc, v29, v11
	s_and_b64 vcc, vcc, s[28:29]
	s_and_saveexec_b64 s[30:31], vcc
	s_cbranch_execz .LBB5_164
; %bb.161:
	s_mov_b64 s[36:37], exec
	v_mbcnt_lo_u32_b32 v12, s36, 0
	v_mbcnt_hi_u32_b32 v12, s37, v12
	v_cmp_eq_u32_e32 vcc, 0, v12
                                        ; implicit-def: $vgpr13
	s_and_saveexec_b64 s[34:35], vcc
	s_cbranch_execz .LBB5_163
; %bb.162:
	s_bcnt1_i32_b64 vcc_lo, s[36:37]
	v_mov_b32_e32 v13, 0
	v_mov_b32_e32 v15, vcc_lo
	ds_add_rtn_u32 v13, v13, v15 offset:33048
.LBB5_163:
	s_or_b64 exec, exec, s[34:35]
	s_ashr_i32 s53, s52, 31
	s_lshl_b64 vcc, s[52:53], 2
	s_getpc_b64 s[34:35]
	s_add_u32 s34, s34, llvm.amdgcn.dynlds.offset.table@rel32@lo+4
	s_addc_u32 s35, s35, llvm.amdgcn.dynlds.offset.table@rel32@hi+12
	s_add_u32 vcc_lo, vcc_lo, s34
	s_addc_u32 vcc_hi, vcc_hi, s35
	s_load_dword vcc_lo, vcc, 0x0
	s_waitcnt lgkmcnt(0)
	v_readfirstlane_b32 vcc_hi, v13
	v_add_u32_e32 v12, vcc_hi, v12
	v_lshl_add_u32 v12, v12, 2, vcc_lo
	ds_write_b32 v12, v18
.LBB5_164:
	s_or_b64 exec, exec, s[30:31]
	v_cmp_eq_u32_e32 vcc, v29, v11
	s_and_b64 s[28:29], vcc, s[28:29]
	s_and_b64 exec, exec, s[28:29]
	s_cbranch_execz .LBB5_168
; %bb.165:
	s_mov_b64 s[30:31], exec
	v_mbcnt_lo_u32_b32 v11, s30, 0
	v_mbcnt_hi_u32_b32 v11, s31, v11
	v_cmp_eq_u32_e32 vcc, 0, v11
                                        ; implicit-def: $vgpr12
	s_and_saveexec_b64 s[28:29], vcc
	s_cbranch_execz .LBB5_167
; %bb.166:
	s_bcnt1_i32_b64 vcc_lo, s[30:31]
	v_mov_b32_e32 v12, 0
	v_mov_b32_e32 v13, vcc_lo
	ds_add_rtn_u32 v12, v12, v13 offset:33040
.LBB5_167:
	s_or_b64 exec, exec, s[28:29]
	s_waitcnt lgkmcnt(0)
	v_readfirstlane_b32 s28, v12
	v_add_lshl_u32 v11, s28, v11, 2
	ds_write2st64_b32 v11, v18, v10 offset0:64 offset1:96
.LBB5_168:
	s_or_b64 exec, exec, s[8:9]
	v_lshlrev_b32_e32 v10, 2, v16
	v_add3_u32 v10, v14, v18, v10
	v_cmp_lt_i32_e32 vcc, v10, v22
	s_and_saveexec_b64 s[8:9], vcc
	s_cbranch_execz .LBB5_177
; %bb.169:
	v_ashrrev_i32_e32 v11, 31, v10
	v_lshlrev_b64 v[12:13], 2, v[10:11]
	v_add_co_u32_e32 v12, vcc, v30, v12
	v_addc_co_u32_e32 v13, vcc, v31, v13, vcc
	flat_load_dword v11, v[12:13]
	v_mov_b32_e32 v12, 0
	ds_read_b32 v12, v12 offset:33044
	s_waitcnt lgkmcnt(0)
	v_readfirstlane_b32 s28, v12
	s_cmpk_lt_i32 s28, 0x801
	s_cselect_b64 s[28:29], -1, 0
	s_waitcnt vmcnt(0)
	v_cvt_f16_f32_e32 v13, v11
	v_xor_b32_e32 v12, -1, v13
	v_and_b32_e32 v12, 0x7fe0, v12
	v_cmp_gt_i16_e32 vcc, 0, v13
	v_cndmask_b32_e32 v12, v12, v13, vcc
	v_lshrrev_b16_e32 v12, 5, v12
	v_cmp_gt_u32_e32 vcc, v29, v12
	s_and_b64 vcc, vcc, s[28:29]
	s_and_saveexec_b64 s[30:31], vcc
	s_cbranch_execz .LBB5_173
; %bb.170:
	s_mov_b64 s[36:37], exec
	v_mbcnt_lo_u32_b32 v13, s36, 0
	v_mbcnt_hi_u32_b32 v13, s37, v13
	v_cmp_eq_u32_e32 vcc, 0, v13
                                        ; implicit-def: $vgpr14
	s_and_saveexec_b64 s[34:35], vcc
	s_cbranch_execz .LBB5_172
; %bb.171:
	s_bcnt1_i32_b64 vcc_lo, s[36:37]
	v_mov_b32_e32 v14, 0
	v_mov_b32_e32 v15, vcc_lo
	ds_add_rtn_u32 v14, v14, v15 offset:33048
.LBB5_172:
	s_or_b64 exec, exec, s[34:35]
	s_ashr_i32 s53, s52, 31
	s_lshl_b64 vcc, s[52:53], 2
	s_getpc_b64 s[34:35]
	s_add_u32 s34, s34, llvm.amdgcn.dynlds.offset.table@rel32@lo+4
	s_addc_u32 s35, s35, llvm.amdgcn.dynlds.offset.table@rel32@hi+12
	s_add_u32 vcc_lo, vcc_lo, s34
	s_addc_u32 vcc_hi, vcc_hi, s35
	s_load_dword vcc_lo, vcc, 0x0
	s_waitcnt lgkmcnt(0)
	v_readfirstlane_b32 vcc_hi, v14
	v_add_u32_e32 v13, vcc_hi, v13
	v_lshl_add_u32 v13, v13, 2, vcc_lo
	ds_write_b32 v13, v10
.LBB5_173:
	s_or_b64 exec, exec, s[30:31]
	v_cmp_eq_u32_e32 vcc, v29, v12
	s_and_b64 s[28:29], vcc, s[28:29]
	s_and_b64 exec, exec, s[28:29]
	s_cbranch_execz .LBB5_177
; %bb.174:
	s_mov_b64 s[30:31], exec
	v_mbcnt_lo_u32_b32 v12, s30, 0
	v_mbcnt_hi_u32_b32 v12, s31, v12
	v_cmp_eq_u32_e32 vcc, 0, v12
                                        ; implicit-def: $vgpr13
	s_and_saveexec_b64 s[28:29], vcc
	s_cbranch_execz .LBB5_176
; %bb.175:
	s_bcnt1_i32_b64 vcc_lo, s[30:31]
	v_mov_b32_e32 v13, 0
	v_mov_b32_e32 v14, vcc_lo
	ds_add_rtn_u32 v13, v13, v14 offset:33040
.LBB5_176:
	s_or_b64 exec, exec, s[28:29]
	s_waitcnt lgkmcnt(0)
	v_readfirstlane_b32 s28, v13
	v_add_lshl_u32 v12, s28, v12, 2
	ds_write2st64_b32 v12, v10, v11 offset0:64 offset1:96
.LBB5_177:
	s_or_b64 exec, exec, s[8:9]
.LBB5_178:
	s_or_b64 exec, exec, s[26:27]
	v_mov_b32_e32 v10, 0
	s_waitcnt lgkmcnt(0)
	s_barrier
	ds_read_b32 v11, v10 offset:33044
	s_movk_i32 s8, 0x801
	s_waitcnt lgkmcnt(0)
	v_cmp_gt_i32_e32 vcc, s8, v11
	s_mov_b64 s[8:9], 0
	s_cbranch_vccnz .LBB5_337
; %bb.179:
	ds_write_b32 v28, v10 offset:2112
	ds_write_b32 v23, v10 offset:2048
	s_and_saveexec_b64 s[8:9], s[20:21]
	s_cbranch_execz .LBB5_181
; %bb.180:
	v_mov_b32_e32 v10, 0
	ds_write_b32 v23, v10 offset:4096
.LBB5_181:
	s_or_b64 exec, exec, s[8:9]
	s_and_saveexec_b64 s[8:9], s[18:19]
	s_cbranch_execz .LBB5_183
; %bb.182:
	v_mov_b32_e32 v10, 0
	ds_write_b32 v23, v10 offset:6144
.LBB5_183:
	s_or_b64 exec, exec, s[8:9]
	s_waitcnt lgkmcnt(0)
	s_barrier
	s_and_saveexec_b64 s[8:9], s[6:7]
	s_xor_b64 s[8:9], exec, s[8:9]
	s_cbranch_execz .LBB5_188
; %bb.184:
	v_add_u32_e32 v12, v18, v2
	v_cmp_lt_i32_e32 vcc, v12, v8
	s_and_saveexec_b64 s[26:27], vcc
	s_cbranch_execz .LBB5_187
; %bb.185:
	v_mul_lo_u32 v10, v6, v12
	v_lshlrev_b32_e32 v13, 9, v6
	s_mov_b64 s[28:29], 0
	v_mov_b32_e32 v14, 1
.LBB5_186:                              ; =>This Inner Loop Header: Depth=1
	v_ashrrev_i32_e32 v11, 31, v10
	v_lshlrev_b64 v[16:17], 2, v[10:11]
	v_add_co_u32_e32 v16, vcc, v0, v16
	v_addc_co_u32_e32 v17, vcc, v1, v17, vcc
	flat_load_dword v11, v[16:17]
	v_add_u32_e32 v12, 0x200, v12
	v_add_u32_e32 v10, v10, v13
	s_waitcnt vmcnt(0) lgkmcnt(0)
	v_not_b32_e32 v15, v11
	v_and_b32_e32 v15, 0x7fe00000, v15
	v_cmp_gt_i32_e32 vcc, 0, v11
	v_cndmask_b32_e32 v11, v15, v11, vcc
	v_lshrrev_b32_e32 v11, 19, v11
	v_and_b32_e32 v11, 0x1ffc, v11
	ds_add_u32 v11, v14 offset:18496
	v_cmp_ge_i32_e32 vcc, v12, v8
	s_or_b64 s[28:29], vcc, s[28:29]
	s_andn2_b64 exec, exec, s[28:29]
	s_cbranch_execnz .LBB5_186
.LBB5_187:
	s_or_b64 exec, exec, s[26:27]
.LBB5_188:
	s_andn2_saveexec_b64 s[36:37], s[8:9]
	s_cbranch_execz .LBB5_197
; %bb.189:
	v_lshlrev_b64 v[12:13], 2, v[2:3]
	v_add_co_u32_e32 v14, vcc, v0, v12
	v_and_b32_e32 v10, 15, v14
	v_addc_co_u32_e32 v15, vcc, v1, v13, vcc
	v_mov_b32_e32 v11, 0
	v_sub_u32_e32 v16, 16, v10
	v_lshrrev_b32_e32 v16, 2, v16
	v_cmp_ne_u64_e32 vcc, 0, v[10:11]
	v_cndmask_b32_e32 v10, 0, v16, vcc
	v_min_i32_e32 v10, v10, v22
	v_sub_u32_e32 v16, v22, v10
	v_ashrrev_i32_e32 v17, 31, v16
	v_lshrrev_b32_e32 v17, 30, v17
	v_add_u32_e32 v16, v16, v17
	v_ashrrev_i32_e32 v16, 2, v16
	s_mov_b64 s[38:39], 0
	v_ashrrev_i32_e32 v11, 31, v10
	v_cmp_gt_i32_e32 vcc, v16, v18
	s_and_saveexec_b64 s[40:41], vcc
	s_cbranch_execz .LBB5_192
; %bb.190:
	v_lshlrev_b32_e32 v17, 4, v18
	v_lshlrev_b64 v[20:21], 2, v[10:11]
	v_add_co_u32_e32 v11, vcc, v17, v20
	v_addc_co_u32_e32 v17, vcc, 0, v21, vcc
	v_add_co_u32_e32 v11, vcc, v11, v12
	v_addc_co_u32_e32 v13, vcc, v17, v13, vcc
	;; [unrolled: 2-line block ×3, first 2 shown]
	v_mov_b32_e32 v11, 1
	v_mov_b32_e32 v17, v18
.LBB5_191:                              ; =>This Inner Loop Header: Depth=1
	flat_load_dwordx4 v[30:33], v[12:13]
	v_add_u32_e32 v17, 0x200, v17
	v_add_co_u32_e32 v12, vcc, 0x2000, v12
	v_cmp_ge_i32_e64 s[8:9], v17, v16
	s_or_b64 s[38:39], s[8:9], s[38:39]
	v_addc_co_u32_e32 v13, vcc, 0, v13, vcc
	s_waitcnt vmcnt(0) lgkmcnt(0)
	v_not_b32_e32 v20, v30
	v_not_b32_e32 v21, v31
	v_not_b32_e32 v29, v32
	v_not_b32_e32 v34, v33
	v_and_b32_e32 v20, 0x7fe00000, v20
	v_cmp_gt_i32_e64 s[34:35], 0, v30
	v_and_b32_e32 v21, 0x7fe00000, v21
	v_cmp_gt_i32_e64 s[26:27], 0, v31
	;; [unrolled: 2-line block ×4, first 2 shown]
	v_cndmask_b32_e64 v20, v20, v30, s[34:35]
	v_cndmask_b32_e64 v21, v21, v31, s[26:27]
	;; [unrolled: 1-line block ×4, first 2 shown]
	v_lshrrev_b32_e32 v20, 19, v20
	v_lshrrev_b32_e32 v21, 19, v21
	;; [unrolled: 1-line block ×4, first 2 shown]
	v_and_b32_e32 v20, 0x1ffc, v20
	v_and_b32_e32 v21, 0x1ffc, v21
	;; [unrolled: 1-line block ×4, first 2 shown]
	ds_add_u32 v20, v11 offset:18496
	ds_add_u32 v21, v11 offset:18496
	;; [unrolled: 1-line block ×4, first 2 shown]
	s_andn2_b64 exec, exec, s[38:39]
	s_cbranch_execnz .LBB5_191
.LBB5_192:
	s_or_b64 exec, exec, s[40:41]
	v_cmp_gt_u32_e32 vcc, v10, v18
	s_and_saveexec_b64 s[8:9], vcc
	s_cbranch_execz .LBB5_194
; %bb.193:
	v_add_co_u32_e32 v12, vcc, v14, v19
	v_addc_co_u32_e32 v13, vcc, 0, v15, vcc
	flat_load_dword v11, v[12:13]
	s_waitcnt vmcnt(0) lgkmcnt(0)
	v_not_b32_e32 v12, v11
	v_and_b32_e32 v12, 0x7fe00000, v12
	v_cmp_gt_i32_e32 vcc, 0, v11
	v_cndmask_b32_e32 v11, v12, v11, vcc
	v_lshrrev_b32_e32 v11, 19, v11
	v_and_b32_e32 v11, 0x1ffc, v11
	v_mov_b32_e32 v12, 1
	ds_add_u32 v11, v12 offset:18496
.LBB5_194:
	s_or_b64 exec, exec, s[8:9]
	v_lshlrev_b32_e32 v11, 2, v16
	v_add3_u32 v10, v10, v18, v11
	v_cmp_lt_i32_e32 vcc, v10, v22
	s_and_saveexec_b64 s[8:9], vcc
	s_cbranch_execz .LBB5_196
; %bb.195:
	v_ashrrev_i32_e32 v11, 31, v10
	v_lshlrev_b64 v[10:11], 2, v[10:11]
	v_add_co_u32_e32 v10, vcc, v14, v10
	v_addc_co_u32_e32 v11, vcc, v15, v11, vcc
	flat_load_dword v10, v[10:11]
	s_waitcnt vmcnt(0) lgkmcnt(0)
	v_not_b32_e32 v11, v10
	v_and_b32_e32 v11, 0x7fe00000, v11
	v_cmp_gt_i32_e32 vcc, 0, v10
	v_cndmask_b32_e32 v10, v11, v10, vcc
	v_lshrrev_b32_e32 v10, 19, v10
	v_and_b32_e32 v10, 0x1ffc, v10
	v_mov_b32_e32 v11, 1
	ds_add_u32 v10, v11 offset:18496
.LBB5_196:
	s_or_b64 exec, exec, s[8:9]
.LBB5_197:
	s_or_b64 exec, exec, s[36:37]
	s_waitcnt lgkmcnt(0)
	s_barrier
	v_mov_b32_e32 v11, 0
	ds_read_b32 v12, v28 offset:2112
	ds_read_b32 v10, v11 offset:33048
	s_waitcnt lgkmcnt(0)
	s_barrier
	ds_write_b32 v26, v12
	s_waitcnt lgkmcnt(0)
	s_barrier
	s_and_saveexec_b64 s[8:9], s[12:13]
	s_cbranch_execz .LBB5_199
; %bb.198:
	ds_read2_b32 v[14:15], v24 offset1:1
	ds_read2_b32 v[16:17], v24 offset0:2 offset1:3
	ds_read2_b32 v[20:21], v24 offset0:4 offset1:5
	;; [unrolled: 1-line block ×3, first 2 shown]
	v_mbcnt_lo_u32_b32 v13, -1, 0
	s_waitcnt lgkmcnt(3)
	v_add_u32_e32 v29, v15, v14
	s_waitcnt lgkmcnt(2)
	v_add3_u32 v29, v29, v16, v17
	s_waitcnt lgkmcnt(1)
	v_add3_u32 v29, v29, v20, v21
	v_mbcnt_hi_u32_b32 v13, -1, v13
	s_waitcnt lgkmcnt(0)
	v_add3_u32 v29, v29, v30, v31
	v_and_b32_e32 v32, 15, v13
	v_cmp_ne_u32_e32 vcc, 0, v32
	v_mov_b32_dpp v33, v29 row_shr:1 row_mask:0xf bank_mask:0xf
	v_cndmask_b32_e32 v33, 0, v33, vcc
	v_add_u32_e32 v29, v33, v29
	v_cmp_lt_u32_e32 vcc, 1, v32
	s_nop 0
	v_mov_b32_dpp v33, v29 row_shr:2 row_mask:0xf bank_mask:0xf
	v_cndmask_b32_e32 v33, 0, v33, vcc
	v_add_u32_e32 v29, v29, v33
	v_cmp_lt_u32_e32 vcc, 3, v32
	s_nop 0
	v_mov_b32_dpp v33, v29 row_shr:4 row_mask:0xf bank_mask:0xf
	v_cndmask_b32_e32 v33, 0, v33, vcc
	v_add_u32_e32 v29, v29, v33
	v_cmp_lt_u32_e32 vcc, 7, v32
	s_nop 0
	v_mov_b32_dpp v33, v29 row_shr:8 row_mask:0xf bank_mask:0xf
	v_cndmask_b32_e32 v32, 0, v33, vcc
	v_add_u32_e32 v29, v29, v32
	v_bfe_i32 v33, v13, 4, 1
	v_cmp_lt_u32_e32 vcc, 31, v13
	v_mov_b32_dpp v32, v29 row_bcast:15 row_mask:0xf bank_mask:0xf
	v_and_b32_e32 v32, v33, v32
	v_add_u32_e32 v29, v29, v32
	v_and_b32_e32 v33, 64, v13
	s_nop 0
	v_mov_b32_dpp v32, v29 row_bcast:31 row_mask:0xf bank_mask:0xf
	v_cndmask_b32_e32 v32, 0, v32, vcc
	v_add_u32_e32 v29, v29, v32
	v_add_u32_e32 v32, -1, v13
	v_cmp_lt_i32_e32 vcc, v32, v33
	v_cndmask_b32_e32 v13, v32, v13, vcc
	v_lshlrev_b32_e32 v13, 2, v13
	ds_bpermute_b32 v13, v13, v29
	s_waitcnt lgkmcnt(0)
	v_add_u32_e32 v13, v13, v14
	v_cndmask_b32_e64 v12, v13, v12, s[10:11]
	v_add_u32_e32 v13, v12, v15
	ds_write2_b32 v24, v12, v13 offset1:1
	v_add_u32_e32 v12, v13, v16
	v_add_u32_e32 v13, v12, v17
	ds_write2_b32 v24, v12, v13 offset0:2 offset1:3
	v_add_u32_e32 v12, v13, v20
	v_add_u32_e32 v13, v12, v21
	ds_write2_b32 v24, v12, v13 offset0:4 offset1:5
	;; [unrolled: 3-line block ×3, first 2 shown]
.LBB5_199:
	s_or_b64 exec, exec, s[8:9]
	s_waitcnt lgkmcnt(0)
	s_barrier
	s_and_saveexec_b64 s[8:9], s[24:25]
	s_cbranch_execz .LBB5_201
; %bb.200:
	ds_read_b32 v11, v25
.LBB5_201:
	s_or_b64 exec, exec, s[8:9]
	v_mov_b32_e32 v12, 0
	ds_read_b32 v13, v12 offset:18488
	s_waitcnt lgkmcnt(1)
	v_add_u32_e32 v11, v11, v10
	v_cmp_lt_i32_e32 vcc, v11, v7
	ds_write_b32 v28, v11 offset:2112
	s_waitcnt lgkmcnt(0)
	v_add_u32_e32 v10, v13, v10
	s_barrier
	s_and_saveexec_b64 s[8:9], vcc
	s_cbranch_execz .LBB5_207
; %bb.202:
	v_mov_b32_e32 v13, v10
	s_and_saveexec_b64 s[26:27], s[14:15]
	s_cbranch_execz .LBB5_204
; %bb.203:
	ds_read_b32 v13, v23 offset:4
.LBB5_204:
	s_or_b64 exec, exec, s[26:27]
	s_waitcnt lgkmcnt(0)
	v_cmp_ge_i32_e32 vcc, v13, v7
	v_mov_b32_e32 v12, 0
	s_and_saveexec_b64 s[26:27], vcc
	s_cbranch_execz .LBB5_206
; %bb.205:
	s_mov_b32 s28, 0x8000
	v_sub_u32_e32 v11, v13, v11
	v_add_u32_e64 v12, s28, 0
	ds_write2_b32 v12, v11, v18 offset0:69 offset1:71
	v_mov_b32_e32 v12, 1
.LBB5_206:
	s_or_b64 exec, exec, s[26:27]
.LBB5_207:
	s_or_b64 exec, exec, s[8:9]
	v_or_b32_dpp v11, v12, v12 row_shl:1 row_mask:0xf bank_mask:0xf bound_ctrl:1
	s_bitcmp1_b32 exec_hi, 0
	s_nop 0
	v_or_b32_dpp v11, v11, v11 row_shl:2 row_mask:0xf bank_mask:0xf bound_ctrl:1
	s_nop 1
	v_or_b32_dpp v11, v11, v11 row_shl:4 row_mask:0xf bank_mask:0xf bound_ctrl:1
	;; [unrolled: 2-line block ×3, first 2 shown]
	s_nop 1
	v_mov_b32_dpp v12, v11 wave_shl:1 row_mask:0xf bank_mask:0xf bound_ctrl:1
	s_nop 1
	v_or_b32_dpp v11, v12, v11 row_mirror row_mask:0xf bank_mask:0xf bound_ctrl:1
	v_readlane_b32 s8, v11, 32
	s_cselect_b32 s8, s8, 0
	v_readlane_b32 s9, v11, 0
	s_or_b32 s28, s8, s9
	v_cndmask_b32_e64 v11, 0, 1, s[56:57]
	v_cmp_ne_u32_e64 s[8:9], 1, v11
	s_andn2_b64 vcc, exec, s[56:57]
	v_mov_b32_e32 v11, s28
	s_cbranch_vccnz .LBB5_214
; %bb.208:
	v_mbcnt_lo_u32_b32 v11, -1, 0
	v_mbcnt_hi_u32_b32 v11, -1, v11
	v_or_b32_e32 v12, v11, v27
	v_cmp_eq_u32_e32 vcc, 0, v12
	s_and_saveexec_b64 s[26:27], vcc
	s_cbranch_execz .LBB5_210
; %bb.209:
	v_mov_b32_e32 v12, 0
	v_mov_b32_e32 v13, s28
	ds_write_b32 v12, v13 offset:32768
.LBB5_210:
	s_or_b64 exec, exec, s[26:27]
	v_cmp_eq_u32_e32 vcc, 0, v11
	s_and_b64 vcc, s[16:17], vcc
	s_waitcnt lgkmcnt(0)
	s_barrier
	s_and_saveexec_b64 s[26:27], vcc
	s_cbranch_execz .LBB5_213
; %bb.211:
	v_mbcnt_lo_u32_b32 v11, exec_lo, 0
	v_mbcnt_hi_u32_b32 v11, exec_hi, v11
	v_cmp_eq_u32_e32 vcc, 0, v11
	s_and_b64 exec, exec, vcc
	s_cbranch_execz .LBB5_213
; %bb.212:
	v_mov_b32_e32 v11, 0
	v_mov_b32_e32 v12, s28
	ds_or_b32 v11, v12 offset:32768
.LBB5_213:
	s_or_b64 exec, exec, s[26:27]
	v_mov_b32_e32 v11, 0
	s_waitcnt lgkmcnt(0)
	s_barrier
	ds_read_b32 v11, v11 offset:32768
	s_waitcnt lgkmcnt(0)
	s_barrier
.LBB5_214:
	v_cmp_eq_u32_e32 vcc, 0, v11
	s_cbranch_vccz .LBB5_268
; %bb.215:
	ds_read_b32 v11, v23 offset:2048
	s_waitcnt lgkmcnt(0)
	s_barrier
	ds_write_b32 v26, v11
	s_waitcnt lgkmcnt(0)
	s_barrier
	s_and_saveexec_b64 s[26:27], s[12:13]
	s_cbranch_execz .LBB5_217
; %bb.216:
	ds_read2_b32 v[12:13], v24 offset1:1
	ds_read2_b32 v[14:15], v24 offset0:2 offset1:3
	ds_read2_b32 v[16:17], v24 offset0:4 offset1:5
	;; [unrolled: 1-line block ×3, first 2 shown]
	v_mbcnt_lo_u32_b32 v29, -1, 0
	s_waitcnt lgkmcnt(3)
	v_add_u32_e32 v30, v13, v12
	s_waitcnt lgkmcnt(2)
	v_add3_u32 v30, v30, v14, v15
	s_waitcnt lgkmcnt(1)
	v_add3_u32 v30, v30, v16, v17
	v_mbcnt_hi_u32_b32 v29, -1, v29
	s_waitcnt lgkmcnt(0)
	v_add3_u32 v30, v30, v20, v21
	v_and_b32_e32 v31, 15, v29
	v_cmp_ne_u32_e32 vcc, 0, v31
	v_mov_b32_dpp v32, v30 row_shr:1 row_mask:0xf bank_mask:0xf
	v_cndmask_b32_e32 v32, 0, v32, vcc
	v_add_u32_e32 v30, v32, v30
	v_cmp_lt_u32_e32 vcc, 1, v31
	s_nop 0
	v_mov_b32_dpp v32, v30 row_shr:2 row_mask:0xf bank_mask:0xf
	v_cndmask_b32_e32 v32, 0, v32, vcc
	v_add_u32_e32 v30, v30, v32
	v_cmp_lt_u32_e32 vcc, 3, v31
	s_nop 0
	;; [unrolled: 5-line block ×3, first 2 shown]
	v_mov_b32_dpp v32, v30 row_shr:8 row_mask:0xf bank_mask:0xf
	v_cndmask_b32_e32 v31, 0, v32, vcc
	v_add_u32_e32 v30, v30, v31
	v_bfe_i32 v32, v29, 4, 1
	v_cmp_lt_u32_e32 vcc, 31, v29
	v_mov_b32_dpp v31, v30 row_bcast:15 row_mask:0xf bank_mask:0xf
	v_and_b32_e32 v31, v32, v31
	v_add_u32_e32 v30, v30, v31
	v_and_b32_e32 v32, 64, v29
	s_nop 0
	v_mov_b32_dpp v31, v30 row_bcast:31 row_mask:0xf bank_mask:0xf
	v_cndmask_b32_e32 v31, 0, v31, vcc
	v_add_u32_e32 v30, v30, v31
	v_add_u32_e32 v31, -1, v29
	v_cmp_lt_i32_e32 vcc, v31, v32
	v_cndmask_b32_e32 v29, v31, v29, vcc
	v_lshlrev_b32_e32 v29, 2, v29
	ds_bpermute_b32 v29, v29, v30
	s_waitcnt lgkmcnt(0)
	v_add_u32_e32 v12, v29, v12
	v_cndmask_b32_e64 v11, v12, v11, s[10:11]
	v_add_u32_e32 v12, v11, v13
	ds_write2_b32 v24, v11, v12 offset1:1
	v_add_u32_e32 v11, v12, v14
	v_add_u32_e32 v12, v11, v15
	ds_write2_b32 v24, v11, v12 offset0:2 offset1:3
	v_add_u32_e32 v11, v12, v16
	v_add_u32_e32 v12, v11, v17
	ds_write2_b32 v24, v11, v12 offset0:4 offset1:5
	;; [unrolled: 3-line block ×3, first 2 shown]
.LBB5_217:
	s_or_b64 exec, exec, s[26:27]
	v_mov_b32_e32 v11, 0
	v_mov_b32_e32 v12, 0
	s_waitcnt lgkmcnt(0)
	s_barrier
	s_and_saveexec_b64 s[26:27], s[24:25]
	s_cbranch_execz .LBB5_219
; %bb.218:
	ds_read_b32 v12, v25
.LBB5_219:
	s_or_b64 exec, exec, s[26:27]
	ds_read_b32 v13, v11 offset:18488
	s_waitcnt lgkmcnt(1)
	v_add_u32_e32 v12, v12, v10
	v_cmp_lt_i32_e32 vcc, v12, v7
	ds_write_b32 v23, v12 offset:2048
	s_waitcnt lgkmcnt(0)
	v_add_u32_e32 v10, v13, v10
	s_barrier
	s_and_saveexec_b64 s[26:27], vcc
	s_cbranch_execz .LBB5_225
; %bb.220:
	v_mov_b32_e32 v13, v10
	s_and_saveexec_b64 s[28:29], s[14:15]
	s_cbranch_execz .LBB5_222
; %bb.221:
	ds_read_b32 v13, v23 offset:2052
.LBB5_222:
	s_or_b64 exec, exec, s[28:29]
	s_waitcnt lgkmcnt(0)
	v_cmp_ge_i32_e32 vcc, v13, v7
	v_mov_b32_e32 v11, 0
	s_and_saveexec_b64 s[28:29], vcc
	s_cbranch_execz .LBB5_224
; %bb.223:
	s_mov_b32 vcc_lo, 0x8000
	v_add_u32_e32 v11, 0x200, v18
	v_sub_u32_e32 v12, v13, v12
	v_add_u32_e64 v13, vcc_lo, 0
	ds_write2_b32 v13, v12, v11 offset0:69 offset1:71
	v_mov_b32_e32 v11, 1
.LBB5_224:
	s_or_b64 exec, exec, s[28:29]
.LBB5_225:
	s_or_b64 exec, exec, s[26:27]
	v_or_b32_dpp v11, v11, v11 row_shl:1 row_mask:0xf bank_mask:0xf bound_ctrl:1
	s_bitcmp1_b32 exec_hi, 0
	s_nop 0
	v_or_b32_dpp v11, v11, v11 row_shl:2 row_mask:0xf bank_mask:0xf bound_ctrl:1
	s_nop 1
	v_or_b32_dpp v11, v11, v11 row_shl:4 row_mask:0xf bank_mask:0xf bound_ctrl:1
	;; [unrolled: 2-line block ×3, first 2 shown]
	s_nop 1
	v_mov_b32_dpp v12, v11 wave_shl:1 row_mask:0xf bank_mask:0xf bound_ctrl:1
	s_nop 1
	v_or_b32_dpp v11, v12, v11 row_mirror row_mask:0xf bank_mask:0xf bound_ctrl:1
	v_readlane_b32 s26, v11, 32
	s_cselect_b32 s26, s26, 0
	v_readlane_b32 s27, v11, 0
	s_or_b32 s28, s26, s27
	s_and_b64 vcc, exec, s[8:9]
	v_mov_b32_e32 v11, s28
	s_cbranch_vccnz .LBB5_232
; %bb.226:
	v_mbcnt_lo_u32_b32 v11, -1, 0
	v_mbcnt_hi_u32_b32 v11, -1, v11
	v_or_b32_e32 v12, v11, v27
	v_cmp_eq_u32_e32 vcc, 0, v12
	s_and_saveexec_b64 s[26:27], vcc
	s_cbranch_execz .LBB5_228
; %bb.227:
	v_mov_b32_e32 v12, 0
	v_mov_b32_e32 v13, s28
	ds_write_b32 v12, v13 offset:32768
.LBB5_228:
	s_or_b64 exec, exec, s[26:27]
	v_cmp_eq_u32_e32 vcc, 0, v11
	s_and_b64 vcc, s[16:17], vcc
	s_waitcnt lgkmcnt(0)
	s_barrier
	s_and_saveexec_b64 s[26:27], vcc
	s_cbranch_execz .LBB5_231
; %bb.229:
	v_mbcnt_lo_u32_b32 v11, exec_lo, 0
	v_mbcnt_hi_u32_b32 v11, exec_hi, v11
	v_cmp_eq_u32_e32 vcc, 0, v11
	s_and_b64 exec, exec, vcc
	s_cbranch_execz .LBB5_231
; %bb.230:
	v_mov_b32_e32 v11, 0
	v_mov_b32_e32 v12, s28
	ds_or_b32 v11, v12 offset:32768
.LBB5_231:
	s_or_b64 exec, exec, s[26:27]
	v_mov_b32_e32 v11, 0
	s_waitcnt lgkmcnt(0)
	s_barrier
	ds_read_b32 v11, v11 offset:32768
	s_waitcnt lgkmcnt(0)
	s_barrier
.LBB5_232:
	v_cmp_ne_u32_e32 vcc, 0, v11
	s_cbranch_vccnz .LBB5_268
; %bb.233:
	ds_read_b32 v11, v23 offset:4096
	s_waitcnt lgkmcnt(0)
	s_barrier
	ds_write_b32 v26, v11
	s_waitcnt lgkmcnt(0)
	s_barrier
	s_and_saveexec_b64 s[26:27], s[12:13]
	s_cbranch_execz .LBB5_235
; %bb.234:
	ds_read2_b32 v[12:13], v24 offset1:1
	ds_read2_b32 v[14:15], v24 offset0:2 offset1:3
	ds_read2_b32 v[16:17], v24 offset0:4 offset1:5
	;; [unrolled: 1-line block ×3, first 2 shown]
	v_mbcnt_lo_u32_b32 v29, -1, 0
	s_waitcnt lgkmcnt(3)
	v_add_u32_e32 v30, v13, v12
	s_waitcnt lgkmcnt(2)
	v_add3_u32 v30, v30, v14, v15
	s_waitcnt lgkmcnt(1)
	v_add3_u32 v30, v30, v16, v17
	v_mbcnt_hi_u32_b32 v29, -1, v29
	s_waitcnt lgkmcnt(0)
	v_add3_u32 v30, v30, v20, v21
	v_and_b32_e32 v31, 15, v29
	v_cmp_ne_u32_e32 vcc, 0, v31
	v_mov_b32_dpp v32, v30 row_shr:1 row_mask:0xf bank_mask:0xf
	v_cndmask_b32_e32 v32, 0, v32, vcc
	v_add_u32_e32 v30, v32, v30
	v_cmp_lt_u32_e32 vcc, 1, v31
	s_nop 0
	v_mov_b32_dpp v32, v30 row_shr:2 row_mask:0xf bank_mask:0xf
	v_cndmask_b32_e32 v32, 0, v32, vcc
	v_add_u32_e32 v30, v30, v32
	v_cmp_lt_u32_e32 vcc, 3, v31
	s_nop 0
	v_mov_b32_dpp v32, v30 row_shr:4 row_mask:0xf bank_mask:0xf
	v_cndmask_b32_e32 v32, 0, v32, vcc
	v_add_u32_e32 v30, v30, v32
	v_cmp_lt_u32_e32 vcc, 7, v31
	s_nop 0
	v_mov_b32_dpp v32, v30 row_shr:8 row_mask:0xf bank_mask:0xf
	v_cndmask_b32_e32 v31, 0, v32, vcc
	v_add_u32_e32 v30, v30, v31
	v_bfe_i32 v32, v29, 4, 1
	v_cmp_lt_u32_e32 vcc, 31, v29
	v_mov_b32_dpp v31, v30 row_bcast:15 row_mask:0xf bank_mask:0xf
	v_and_b32_e32 v31, v32, v31
	v_add_u32_e32 v30, v30, v31
	v_and_b32_e32 v32, 64, v29
	s_nop 0
	v_mov_b32_dpp v31, v30 row_bcast:31 row_mask:0xf bank_mask:0xf
	v_cndmask_b32_e32 v31, 0, v31, vcc
	v_add_u32_e32 v30, v30, v31
	v_add_u32_e32 v31, -1, v29
	v_cmp_lt_i32_e32 vcc, v31, v32
	v_cndmask_b32_e32 v29, v31, v29, vcc
	v_lshlrev_b32_e32 v29, 2, v29
	ds_bpermute_b32 v29, v29, v30
	s_waitcnt lgkmcnt(0)
	v_add_u32_e32 v12, v29, v12
	v_cndmask_b32_e64 v11, v12, v11, s[10:11]
	v_add_u32_e32 v12, v11, v13
	ds_write2_b32 v24, v11, v12 offset1:1
	v_add_u32_e32 v11, v12, v14
	v_add_u32_e32 v12, v11, v15
	ds_write2_b32 v24, v11, v12 offset0:2 offset1:3
	v_add_u32_e32 v11, v12, v16
	v_add_u32_e32 v12, v11, v17
	ds_write2_b32 v24, v11, v12 offset0:4 offset1:5
	;; [unrolled: 3-line block ×3, first 2 shown]
.LBB5_235:
	s_or_b64 exec, exec, s[26:27]
	v_mov_b32_e32 v11, 0
	v_mov_b32_e32 v12, 0
	s_waitcnt lgkmcnt(0)
	s_barrier
	s_and_saveexec_b64 s[26:27], s[24:25]
	s_cbranch_execz .LBB5_237
; %bb.236:
	ds_read_b32 v12, v25
.LBB5_237:
	s_or_b64 exec, exec, s[26:27]
	ds_read_b32 v13, v11 offset:18488
	s_waitcnt lgkmcnt(1)
	v_add_u32_e32 v12, v12, v10
	v_cmp_lt_i32_e32 vcc, v12, v7
	ds_write_b32 v23, v12 offset:4096
	s_waitcnt lgkmcnt(0)
	v_add_u32_e32 v10, v13, v10
	s_barrier
	s_and_saveexec_b64 s[26:27], vcc
	s_cbranch_execz .LBB5_243
; %bb.238:
	v_mov_b32_e32 v13, v10
	s_and_saveexec_b64 s[28:29], s[14:15]
	s_cbranch_execz .LBB5_240
; %bb.239:
	ds_read_b32 v13, v23 offset:4100
.LBB5_240:
	s_or_b64 exec, exec, s[28:29]
	s_waitcnt lgkmcnt(0)
	v_cmp_ge_i32_e32 vcc, v13, v7
	v_mov_b32_e32 v11, 0
	s_and_saveexec_b64 s[28:29], vcc
	s_cbranch_execz .LBB5_242
; %bb.241:
	s_mov_b32 vcc_lo, 0x8000
	v_or_b32_e32 v11, 0x400, v18
	v_sub_u32_e32 v12, v13, v12
	v_add_u32_e64 v13, vcc_lo, 0
	ds_write2_b32 v13, v12, v11 offset0:69 offset1:71
	v_mov_b32_e32 v11, 1
.LBB5_242:
	s_or_b64 exec, exec, s[28:29]
.LBB5_243:
	s_or_b64 exec, exec, s[26:27]
	v_or_b32_dpp v11, v11, v11 row_shl:1 row_mask:0xf bank_mask:0xf bound_ctrl:1
	s_bitcmp1_b32 exec_hi, 0
	s_nop 0
	v_or_b32_dpp v11, v11, v11 row_shl:2 row_mask:0xf bank_mask:0xf bound_ctrl:1
	s_nop 1
	v_or_b32_dpp v11, v11, v11 row_shl:4 row_mask:0xf bank_mask:0xf bound_ctrl:1
	;; [unrolled: 2-line block ×3, first 2 shown]
	s_nop 1
	v_mov_b32_dpp v12, v11 wave_shl:1 row_mask:0xf bank_mask:0xf bound_ctrl:1
	s_nop 1
	v_or_b32_dpp v11, v12, v11 row_mirror row_mask:0xf bank_mask:0xf bound_ctrl:1
	v_readlane_b32 s26, v11, 32
	s_cselect_b32 s26, s26, 0
	v_readlane_b32 s27, v11, 0
	s_or_b32 s28, s26, s27
	s_and_b64 vcc, exec, s[8:9]
	v_mov_b32_e32 v11, s28
	s_cbranch_vccnz .LBB5_250
; %bb.244:
	v_mbcnt_lo_u32_b32 v11, -1, 0
	v_mbcnt_hi_u32_b32 v11, -1, v11
	v_or_b32_e32 v12, v11, v27
	v_cmp_eq_u32_e32 vcc, 0, v12
	s_and_saveexec_b64 s[26:27], vcc
	s_cbranch_execz .LBB5_246
; %bb.245:
	v_mov_b32_e32 v12, 0
	v_mov_b32_e32 v13, s28
	ds_write_b32 v12, v13 offset:32768
.LBB5_246:
	s_or_b64 exec, exec, s[26:27]
	v_cmp_eq_u32_e32 vcc, 0, v11
	s_and_b64 vcc, s[16:17], vcc
	s_waitcnt lgkmcnt(0)
	s_barrier
	s_and_saveexec_b64 s[26:27], vcc
	s_cbranch_execz .LBB5_249
; %bb.247:
	v_mbcnt_lo_u32_b32 v11, exec_lo, 0
	v_mbcnt_hi_u32_b32 v11, exec_hi, v11
	v_cmp_eq_u32_e32 vcc, 0, v11
	s_and_b64 exec, exec, vcc
	s_cbranch_execz .LBB5_249
; %bb.248:
	v_mov_b32_e32 v11, 0
	v_mov_b32_e32 v12, s28
	ds_or_b32 v11, v12 offset:32768
.LBB5_249:
	s_or_b64 exec, exec, s[26:27]
	v_mov_b32_e32 v11, 0
	s_waitcnt lgkmcnt(0)
	s_barrier
	ds_read_b32 v11, v11 offset:32768
	s_waitcnt lgkmcnt(0)
	s_barrier
.LBB5_250:
	v_cmp_ne_u32_e32 vcc, 0, v11
	s_cbranch_vccnz .LBB5_268
; %bb.251:
	ds_read_b32 v11, v23 offset:6144
	s_waitcnt lgkmcnt(0)
	s_barrier
	ds_write_b32 v26, v11
	s_waitcnt lgkmcnt(0)
	s_barrier
	s_and_saveexec_b64 s[26:27], s[12:13]
	s_cbranch_execz .LBB5_253
; %bb.252:
	ds_read2_b32 v[12:13], v24 offset1:1
	ds_read2_b32 v[14:15], v24 offset0:2 offset1:3
	ds_read2_b32 v[16:17], v24 offset0:4 offset1:5
	;; [unrolled: 1-line block ×3, first 2 shown]
	v_mbcnt_lo_u32_b32 v29, -1, 0
	s_waitcnt lgkmcnt(3)
	v_add_u32_e32 v30, v13, v12
	s_waitcnt lgkmcnt(2)
	v_add3_u32 v30, v30, v14, v15
	s_waitcnt lgkmcnt(1)
	v_add3_u32 v30, v30, v16, v17
	v_mbcnt_hi_u32_b32 v29, -1, v29
	s_waitcnt lgkmcnt(0)
	v_add3_u32 v30, v30, v20, v21
	v_and_b32_e32 v31, 15, v29
	v_cmp_ne_u32_e32 vcc, 0, v31
	v_mov_b32_dpp v32, v30 row_shr:1 row_mask:0xf bank_mask:0xf
	v_cndmask_b32_e32 v32, 0, v32, vcc
	v_add_u32_e32 v30, v32, v30
	v_cmp_lt_u32_e32 vcc, 1, v31
	s_nop 0
	v_mov_b32_dpp v32, v30 row_shr:2 row_mask:0xf bank_mask:0xf
	v_cndmask_b32_e32 v32, 0, v32, vcc
	v_add_u32_e32 v30, v30, v32
	v_cmp_lt_u32_e32 vcc, 3, v31
	s_nop 0
	;; [unrolled: 5-line block ×3, first 2 shown]
	v_mov_b32_dpp v32, v30 row_shr:8 row_mask:0xf bank_mask:0xf
	v_cndmask_b32_e32 v31, 0, v32, vcc
	v_add_u32_e32 v30, v30, v31
	v_bfe_i32 v32, v29, 4, 1
	v_cmp_lt_u32_e32 vcc, 31, v29
	v_mov_b32_dpp v31, v30 row_bcast:15 row_mask:0xf bank_mask:0xf
	v_and_b32_e32 v31, v32, v31
	v_add_u32_e32 v30, v30, v31
	v_and_b32_e32 v32, 64, v29
	s_nop 0
	v_mov_b32_dpp v31, v30 row_bcast:31 row_mask:0xf bank_mask:0xf
	v_cndmask_b32_e32 v31, 0, v31, vcc
	v_add_u32_e32 v30, v30, v31
	v_add_u32_e32 v31, -1, v29
	v_cmp_lt_i32_e32 vcc, v31, v32
	v_cndmask_b32_e32 v29, v31, v29, vcc
	v_lshlrev_b32_e32 v29, 2, v29
	ds_bpermute_b32 v29, v29, v30
	s_waitcnt lgkmcnt(0)
	v_add_u32_e32 v12, v29, v12
	v_cndmask_b32_e64 v11, v12, v11, s[10:11]
	v_add_u32_e32 v12, v11, v13
	ds_write2_b32 v24, v11, v12 offset1:1
	v_add_u32_e32 v11, v12, v14
	v_add_u32_e32 v12, v11, v15
	ds_write2_b32 v24, v11, v12 offset0:2 offset1:3
	v_add_u32_e32 v11, v12, v16
	v_add_u32_e32 v12, v11, v17
	ds_write2_b32 v24, v11, v12 offset0:4 offset1:5
	;; [unrolled: 3-line block ×3, first 2 shown]
.LBB5_253:
	s_or_b64 exec, exec, s[26:27]
	v_mov_b32_e32 v11, 0
	v_mov_b32_e32 v12, 0
	s_waitcnt lgkmcnt(0)
	s_barrier
	s_and_saveexec_b64 s[26:27], s[24:25]
	s_cbranch_execz .LBB5_255
; %bb.254:
	ds_read_b32 v12, v25
.LBB5_255:
	s_or_b64 exec, exec, s[26:27]
	ds_read_b32 v13, v11 offset:18488
	s_waitcnt lgkmcnt(1)
	v_add_u32_e32 v12, v12, v10
	v_cmp_lt_i32_e32 vcc, v12, v7
	ds_write_b32 v23, v12 offset:6144
	s_waitcnt lgkmcnt(0)
	s_barrier
	s_and_saveexec_b64 s[26:27], vcc
	s_cbranch_execz .LBB5_261
; %bb.256:
	v_add_u32_e32 v10, v13, v10
	s_and_saveexec_b64 s[28:29], s[14:15]
	s_cbranch_execz .LBB5_258
; %bb.257:
	ds_read_b32 v10, v23 offset:6148
.LBB5_258:
	s_or_b64 exec, exec, s[28:29]
	s_waitcnt lgkmcnt(0)
	v_cmp_ge_i32_e32 vcc, v10, v7
	v_mov_b32_e32 v11, 0
	s_and_saveexec_b64 s[28:29], vcc
	s_cbranch_execz .LBB5_260
; %bb.259:
	s_mov_b32 vcc_lo, 0x8000
	v_add_u32_e32 v11, 0x600, v18
	v_sub_u32_e32 v10, v10, v12
	v_add_u32_e64 v12, vcc_lo, 0
	ds_write2_b32 v12, v10, v11 offset0:69 offset1:71
	v_mov_b32_e32 v11, 1
.LBB5_260:
	s_or_b64 exec, exec, s[28:29]
.LBB5_261:
	s_or_b64 exec, exec, s[26:27]
	v_or_b32_dpp v10, v11, v11 row_shl:1 row_mask:0xf bank_mask:0xf bound_ctrl:1
	s_and_b64 vcc, exec, s[8:9]
	s_nop 0
	v_or_b32_dpp v10, v10, v10 row_shl:2 row_mask:0xf bank_mask:0xf bound_ctrl:1
	s_nop 1
	v_or_b32_dpp v10, v10, v10 row_shl:4 row_mask:0xf bank_mask:0xf bound_ctrl:1
	;; [unrolled: 2-line block ×3, first 2 shown]
	s_nop 1
	v_mov_b32_dpp v11, v10 wave_shl:1 row_mask:0xf bank_mask:0xf bound_ctrl:1
	s_nop 1
	v_or_b32_dpp v10, v11, v10 row_mirror row_mask:0xf bank_mask:0xf bound_ctrl:1
	v_readlane_b32 s26, v10, 32
	v_readlane_b32 s8, v10, 0
	s_cbranch_vccnz .LBB5_268
; %bb.262:
	v_mbcnt_lo_u32_b32 v10, -1, 0
	s_bitcmp1_b32 exec_hi, 0
	v_mbcnt_hi_u32_b32 v10, -1, v10
	s_cselect_b32 s9, s26, 0
	v_or_b32_e32 v11, v10, v27
	s_or_b32 s26, s9, s8
	v_cmp_eq_u32_e32 vcc, 0, v11
	s_and_saveexec_b64 s[8:9], vcc
	s_cbranch_execz .LBB5_264
; %bb.263:
	v_mov_b32_e32 v11, 0
	v_mov_b32_e32 v12, s26
	ds_write_b32 v11, v12 offset:32768
.LBB5_264:
	s_or_b64 exec, exec, s[8:9]
	v_cmp_eq_u32_e32 vcc, 0, v10
	s_and_b64 s[28:29], s[16:17], vcc
	s_waitcnt lgkmcnt(0)
	s_barrier
	s_and_saveexec_b64 s[8:9], s[28:29]
	s_cbranch_execz .LBB5_267
; %bb.265:
	v_mbcnt_lo_u32_b32 v10, exec_lo, 0
	v_mbcnt_hi_u32_b32 v10, exec_hi, v10
	v_cmp_eq_u32_e32 vcc, 0, v10
	s_and_b64 exec, exec, vcc
	s_cbranch_execz .LBB5_267
; %bb.266:
	v_mov_b32_e32 v10, 0
	v_mov_b32_e32 v11, s26
	ds_or_b32 v10, v11 offset:32768
.LBB5_267:
	s_or_b64 exec, exec, s[8:9]
	v_mov_b32_e32 v10, 0
	s_waitcnt lgkmcnt(0)
	s_barrier
	ds_read_b32 v10, v10 offset:32768
	s_waitcnt lgkmcnt(0)
	s_barrier
.LBB5_268:
	v_mov_b32_e32 v10, 0
	s_waitcnt lgkmcnt(0)
	s_barrier
	ds_read_b32 v29, v10 offset:33052
	s_and_saveexec_b64 s[8:9], s[6:7]
	s_xor_b64 s[8:9], exec, s[8:9]
	s_cbranch_execz .LBB5_281
; %bb.269:
	v_add_u32_e32 v12, v18, v2
	v_cmp_lt_i32_e32 vcc, v12, v8
	s_and_saveexec_b64 s[26:27], vcc
	s_cbranch_execz .LBB5_280
; %bb.270:
	v_mov_b32_e32 v13, 0
	ds_read_b32 v11, v13 offset:33044
	v_mul_lo_u32 v10, v6, v12
	v_lshlrev_b32_e32 v14, 9, v6
	s_mov_b64 s[34:35], 0
	s_waitcnt lgkmcnt(0)
	v_readfirstlane_b32 s28, v11
	s_cmpk_lt_i32 s28, 0x801
	s_cselect_b64 s[28:29], -1, 0
	s_ashr_i32 s53, s52, 31
	s_getpc_b64 vcc
	s_add_u32 vcc_lo, vcc_lo, llvm.amdgcn.dynlds.offset.table@rel32@lo+4
	s_addc_u32 vcc_hi, vcc_hi, llvm.amdgcn.dynlds.offset.table@rel32@hi+12
	s_lshl_b64 s[30:31], s[52:53], 2
	s_add_u32 s30, s30, vcc_lo
	s_addc_u32 s31, s31, vcc_hi
	s_branch .LBB5_273
.LBB5_271:                              ;   in Loop: Header=BB5_273 Depth=1
	s_or_b64 exec, exec, s[38:39]
	s_waitcnt lgkmcnt(0)
	v_readfirstlane_b32 vcc_lo, v16
	v_add_lshl_u32 v15, vcc_lo, v15, 2
	ds_write2st64_b32 v15, v12, v11 offset0:64 offset1:96
.LBB5_272:                              ;   in Loop: Header=BB5_273 Depth=1
	s_or_b64 exec, exec, s[36:37]
	v_add_u32_e32 v12, 0x200, v12
	v_cmp_ge_i32_e32 vcc, v12, v8
	s_or_b64 s[34:35], vcc, s[34:35]
	v_add_u32_e32 v10, v10, v14
	s_andn2_b64 exec, exec, s[34:35]
	s_cbranch_execz .LBB5_280
.LBB5_273:                              ; =>This Inner Loop Header: Depth=1
	v_ashrrev_i32_e32 v11, 31, v10
	v_lshlrev_b64 v[16:17], 2, v[10:11]
	v_add_co_u32_e32 v16, vcc, v0, v16
	v_addc_co_u32_e32 v17, vcc, v1, v17, vcc
	flat_load_dword v11, v[16:17]
	s_waitcnt vmcnt(0) lgkmcnt(0)
	v_not_b32_e32 v15, v11
	v_and_b32_e32 v15, 0x7fe00000, v15
	v_cmp_gt_i32_e32 vcc, 0, v11
	v_cndmask_b32_e32 v15, v15, v11, vcc
	v_lshrrev_b32_e32 v15, 21, v15
	v_cmp_lt_u32_e32 vcc, v15, v29
	s_and_saveexec_b64 s[36:37], vcc
	s_cbranch_execz .LBB5_277
; %bb.274:                              ;   in Loop: Header=BB5_273 Depth=1
	s_mov_b64 s[40:41], exec
	v_mbcnt_lo_u32_b32 v16, s40, 0
	v_mbcnt_hi_u32_b32 v16, s41, v16
	v_cmp_eq_u32_e32 vcc, 0, v16
                                        ; implicit-def: $vgpr17
	s_and_saveexec_b64 s[38:39], vcc
	s_cbranch_execz .LBB5_276
; %bb.275:                              ;   in Loop: Header=BB5_273 Depth=1
	s_bcnt1_i32_b64 vcc_lo, s[40:41]
	v_mov_b32_e32 v17, vcc_lo
	ds_add_rtn_u32 v17, v13, v17 offset:33048
.LBB5_276:                              ;   in Loop: Header=BB5_273 Depth=1
	s_or_b64 exec, exec, s[38:39]
	s_load_dword vcc_lo, s[30:31], 0x0
	s_waitcnt lgkmcnt(0)
	v_readfirstlane_b32 vcc_hi, v17
	v_add_u32_e32 v16, vcc_hi, v16
	v_lshl_add_u32 v16, v16, 2, vcc_lo
	ds_write_b32 v16, v12
.LBB5_277:                              ;   in Loop: Header=BB5_273 Depth=1
	s_or_b64 exec, exec, s[36:37]
	v_cmp_eq_u32_e32 vcc, v15, v29
	s_and_b64 vcc, vcc, s[28:29]
	s_and_saveexec_b64 s[36:37], vcc
	s_cbranch_execz .LBB5_272
; %bb.278:                              ;   in Loop: Header=BB5_273 Depth=1
	s_mov_b64 s[40:41], exec
	v_mbcnt_lo_u32_b32 v15, s40, 0
	v_mbcnt_hi_u32_b32 v15, s41, v15
	v_cmp_eq_u32_e32 vcc, 0, v15
                                        ; implicit-def: $vgpr16
	s_and_saveexec_b64 s[38:39], vcc
	s_cbranch_execz .LBB5_271
; %bb.279:                              ;   in Loop: Header=BB5_273 Depth=1
	s_bcnt1_i32_b64 vcc_lo, s[40:41]
	v_mov_b32_e32 v16, vcc_lo
	ds_add_rtn_u32 v16, v13, v16 offset:33040
	s_branch .LBB5_271
.LBB5_280:
	s_or_b64 exec, exec, s[26:27]
.LBB5_281:
	s_andn2_saveexec_b64 s[26:27], s[8:9]
	s_cbranch_execz .LBB5_336
; %bb.282:
	v_lshlrev_b64 v[10:11], 2, v[2:3]
	v_add_co_u32_e32 v30, vcc, v0, v10
	v_and_b32_e32 v16, 15, v30
	v_mov_b32_e32 v17, 0
	v_addc_co_u32_e32 v31, vcc, v1, v11, vcc
	v_sub_u32_e32 v12, 16, v16
	v_lshrrev_b32_e32 v12, 2, v12
	v_cmp_ne_u64_e32 vcc, 0, v[16:17]
	v_cndmask_b32_e32 v12, 0, v12, vcc
	v_min_i32_e32 v14, v12, v22
	v_sub_u32_e32 v12, v22, v14
	v_ashrrev_i32_e32 v13, 31, v12
	v_lshrrev_b32_e32 v13, 30, v13
	v_add_u32_e32 v12, v12, v13
	v_ashrrev_i32_e32 v16, 2, v12
	s_mov_b64 s[28:29], 0
	v_ashrrev_i32_e32 v15, 31, v14
	v_cmp_gt_i32_e32 vcc, v16, v18
	s_and_saveexec_b64 s[30:31], vcc
	s_cbranch_execz .LBB5_317
; %bb.283:
	ds_read_b32 v12, v17 offset:33044
	v_lshlrev_b32_e32 v20, 4, v18
	v_lshl_add_u32 v32, v18, 2, v14
	s_waitcnt lgkmcnt(0)
	v_readfirstlane_b32 s8, v12
	s_cmpk_lt_i32 s8, 0x801
	s_cselect_b64 s[34:35], -1, 0
	s_cmpk_gt_i32 s8, 0x800
	s_cselect_b64 s[8:9], -1, 0
	s_ashr_i32 s53, s52, 31
	s_getpc_b64 vcc
	s_add_u32 vcc_lo, vcc_lo, llvm.amdgcn.dynlds.offset.table@rel32@lo+4
	s_addc_u32 vcc_hi, vcc_hi, llvm.amdgcn.dynlds.offset.table@rel32@hi+12
	s_lshl_b64 s[36:37], s[52:53], 2
	s_add_u32 s36, s36, vcc_lo
	v_lshlrev_b64 v[12:13], 2, v[14:15]
	s_addc_u32 s37, s37, vcc_hi
	v_add_co_u32_e32 v12, vcc, v20, v12
	v_addc_co_u32_e32 v13, vcc, 0, v13, vcc
	v_add_co_u32_e32 v10, vcc, v12, v10
	v_addc_co_u32_e32 v11, vcc, v13, v11, vcc
	;; [unrolled: 2-line block ×3, first 2 shown]
	s_xor_b64 s[38:39], s[8:9], -1
	v_mov_b32_e32 v15, v18
	s_branch .LBB5_286
.LBB5_284:                              ;   in Loop: Header=BB5_286 Depth=1
	s_or_b64 exec, exec, s[40:41]
	s_waitcnt lgkmcnt(0)
	v_readfirstlane_b32 vcc_lo, v12
	v_add_lshl_u32 v11, vcc_lo, v11, 2
	ds_write2st64_b32 v11, v10, v13 offset0:64 offset1:96
.LBB5_285:                              ;   in Loop: Header=BB5_286 Depth=1
	s_or_b64 exec, exec, s[8:9]
	v_add_u32_e32 v15, 0x200, v15
	v_add_co_u32_e32 v20, vcc, 0x2000, v20
	v_cmp_ge_i32_e64 s[8:9], v15, v16
	v_add_u32_e32 v32, 0x800, v32
	s_or_b64 s[28:29], s[8:9], s[28:29]
	v_addc_co_u32_e32 v21, vcc, 0, v21, vcc
	s_andn2_b64 exec, exec, s[28:29]
	s_cbranch_execz .LBB5_317
.LBB5_286:                              ; =>This Inner Loop Header: Depth=1
	flat_load_dwordx4 v[10:13], v[20:21]
	s_waitcnt vmcnt(0) lgkmcnt(0)
	v_not_b32_e32 v33, v10
	v_and_b32_e32 v33, 0x7fe00000, v33
	v_cmp_gt_i32_e32 vcc, 0, v10
	v_cndmask_b32_e32 v33, v33, v10, vcc
	v_lshrrev_b32_e32 v33, 21, v33
	v_cmp_lt_u32_e32 vcc, v33, v29
	s_and_saveexec_b64 s[8:9], vcc
	s_cbranch_execz .LBB5_290
; %bb.287:                              ;   in Loop: Header=BB5_286 Depth=1
	s_mov_b64 s[42:43], exec
	v_mbcnt_lo_u32_b32 v34, s42, 0
	v_mbcnt_hi_u32_b32 v34, s43, v34
	v_cmp_eq_u32_e32 vcc, 0, v34
                                        ; implicit-def: $vgpr35
	s_and_saveexec_b64 s[40:41], vcc
	s_cbranch_execz .LBB5_289
; %bb.288:                              ;   in Loop: Header=BB5_286 Depth=1
	s_bcnt1_i32_b64 vcc_lo, s[42:43]
	v_mov_b32_e32 v35, vcc_lo
	ds_add_rtn_u32 v35, v17, v35 offset:33048
.LBB5_289:                              ;   in Loop: Header=BB5_286 Depth=1
	s_or_b64 exec, exec, s[40:41]
	s_load_dword vcc_lo, s[36:37], 0x0
	s_waitcnt lgkmcnt(0)
	v_readfirstlane_b32 vcc_hi, v35
	v_add_u32_e32 v34, vcc_hi, v34
	v_lshl_add_u32 v34, v34, 2, vcc_lo
	ds_write_b32 v34, v32
.LBB5_290:                              ;   in Loop: Header=BB5_286 Depth=1
	s_or_b64 exec, exec, s[8:9]
	v_cmp_eq_u32_e32 vcc, v33, v29
	s_and_b64 vcc, vcc, s[38:39]
	s_and_saveexec_b64 s[8:9], vcc
	s_cbranch_execz .LBB5_294
; %bb.291:                              ;   in Loop: Header=BB5_286 Depth=1
	s_mov_b64 s[42:43], exec
	v_mbcnt_lo_u32_b32 v33, s42, 0
	v_mbcnt_hi_u32_b32 v33, s43, v33
	v_cmp_eq_u32_e32 vcc, 0, v33
                                        ; implicit-def: $vgpr34
	s_and_saveexec_b64 s[40:41], vcc
	s_cbranch_execz .LBB5_293
; %bb.292:                              ;   in Loop: Header=BB5_286 Depth=1
	s_bcnt1_i32_b64 vcc_lo, s[42:43]
	v_mov_b32_e32 v34, vcc_lo
	ds_add_rtn_u32 v34, v17, v34 offset:33040
.LBB5_293:                              ;   in Loop: Header=BB5_286 Depth=1
	s_or_b64 exec, exec, s[40:41]
	s_waitcnt lgkmcnt(0)
	v_readfirstlane_b32 vcc_lo, v34
	v_add_lshl_u32 v33, vcc_lo, v33, 2
	ds_write2st64_b32 v33, v32, v10 offset0:64 offset1:96
.LBB5_294:                              ;   in Loop: Header=BB5_286 Depth=1
	s_or_b64 exec, exec, s[8:9]
	v_not_b32_e32 v33, v11
	v_and_b32_e32 v33, 0x7fe00000, v33
	v_cmp_gt_i32_e32 vcc, 0, v11
	v_cndmask_b32_e32 v33, v33, v11, vcc
	v_lshrrev_b32_e32 v33, 21, v33
	v_add_u32_e32 v10, 1, v32
	v_cmp_lt_u32_e32 vcc, v33, v29
	s_and_saveexec_b64 s[8:9], vcc
	s_cbranch_execz .LBB5_298
; %bb.295:                              ;   in Loop: Header=BB5_286 Depth=1
	s_mov_b64 s[42:43], exec
	v_mbcnt_lo_u32_b32 v34, s42, 0
	v_mbcnt_hi_u32_b32 v34, s43, v34
	v_cmp_eq_u32_e32 vcc, 0, v34
                                        ; implicit-def: $vgpr35
	s_and_saveexec_b64 s[40:41], vcc
	s_cbranch_execz .LBB5_297
; %bb.296:                              ;   in Loop: Header=BB5_286 Depth=1
	s_bcnt1_i32_b64 vcc_lo, s[42:43]
	v_mov_b32_e32 v35, vcc_lo
	ds_add_rtn_u32 v35, v17, v35 offset:33048
.LBB5_297:                              ;   in Loop: Header=BB5_286 Depth=1
	s_or_b64 exec, exec, s[40:41]
	s_load_dword vcc_lo, s[36:37], 0x0
	s_waitcnt lgkmcnt(0)
	v_readfirstlane_b32 vcc_hi, v35
	v_add_u32_e32 v34, vcc_hi, v34
	v_lshl_add_u32 v34, v34, 2, vcc_lo
	ds_write_b32 v34, v10
.LBB5_298:                              ;   in Loop: Header=BB5_286 Depth=1
	s_or_b64 exec, exec, s[8:9]
	v_cmp_eq_u32_e32 vcc, v33, v29
	s_and_b64 vcc, vcc, s[38:39]
	s_and_saveexec_b64 s[8:9], vcc
	s_cbranch_execz .LBB5_302
; %bb.299:                              ;   in Loop: Header=BB5_286 Depth=1
	s_mov_b64 s[42:43], exec
	v_mbcnt_lo_u32_b32 v33, s42, 0
	v_mbcnt_hi_u32_b32 v33, s43, v33
	v_cmp_eq_u32_e32 vcc, 0, v33
                                        ; implicit-def: $vgpr34
	s_and_saveexec_b64 s[40:41], vcc
	s_cbranch_execz .LBB5_301
; %bb.300:                              ;   in Loop: Header=BB5_286 Depth=1
	s_bcnt1_i32_b64 vcc_lo, s[42:43]
	v_mov_b32_e32 v34, vcc_lo
	ds_add_rtn_u32 v34, v17, v34 offset:33040
.LBB5_301:                              ;   in Loop: Header=BB5_286 Depth=1
	s_or_b64 exec, exec, s[40:41]
	s_waitcnt lgkmcnt(0)
	v_readfirstlane_b32 vcc_lo, v34
	v_add_lshl_u32 v33, vcc_lo, v33, 2
	ds_write2st64_b32 v33, v10, v11 offset0:64 offset1:96
.LBB5_302:                              ;   in Loop: Header=BB5_286 Depth=1
	s_or_b64 exec, exec, s[8:9]
	v_not_b32_e32 v11, v12
	v_and_b32_e32 v11, 0x7fe00000, v11
	v_cmp_gt_i32_e32 vcc, 0, v12
	v_cndmask_b32_e32 v11, v11, v12, vcc
	v_lshrrev_b32_e32 v11, 21, v11
	v_add_u32_e32 v10, 2, v32
	v_cmp_lt_u32_e32 vcc, v11, v29
	s_and_saveexec_b64 s[8:9], vcc
	s_cbranch_execz .LBB5_306
; %bb.303:                              ;   in Loop: Header=BB5_286 Depth=1
	s_mov_b64 s[42:43], exec
	v_mbcnt_lo_u32_b32 v33, s42, 0
	v_mbcnt_hi_u32_b32 v33, s43, v33
	v_cmp_eq_u32_e32 vcc, 0, v33
                                        ; implicit-def: $vgpr34
	s_and_saveexec_b64 s[40:41], vcc
	s_cbranch_execz .LBB5_305
; %bb.304:                              ;   in Loop: Header=BB5_286 Depth=1
	s_bcnt1_i32_b64 vcc_lo, s[42:43]
	v_mov_b32_e32 v34, vcc_lo
	ds_add_rtn_u32 v34, v17, v34 offset:33048
.LBB5_305:                              ;   in Loop: Header=BB5_286 Depth=1
	s_or_b64 exec, exec, s[40:41]
	s_load_dword vcc_lo, s[36:37], 0x0
	s_waitcnt lgkmcnt(0)
	v_readfirstlane_b32 vcc_hi, v34
	v_add_u32_e32 v33, vcc_hi, v33
	v_lshl_add_u32 v33, v33, 2, vcc_lo
	ds_write_b32 v33, v10
.LBB5_306:                              ;   in Loop: Header=BB5_286 Depth=1
	s_or_b64 exec, exec, s[8:9]
	v_cmp_eq_u32_e32 vcc, v11, v29
	s_and_b64 vcc, vcc, s[38:39]
	s_and_saveexec_b64 s[8:9], vcc
	s_cbranch_execz .LBB5_310
; %bb.307:                              ;   in Loop: Header=BB5_286 Depth=1
	s_mov_b64 s[42:43], exec
	v_mbcnt_lo_u32_b32 v11, s42, 0
	v_mbcnt_hi_u32_b32 v11, s43, v11
	v_cmp_eq_u32_e32 vcc, 0, v11
                                        ; implicit-def: $vgpr33
	s_and_saveexec_b64 s[40:41], vcc
	s_cbranch_execz .LBB5_309
; %bb.308:                              ;   in Loop: Header=BB5_286 Depth=1
	s_bcnt1_i32_b64 vcc_lo, s[42:43]
	v_mov_b32_e32 v33, vcc_lo
	ds_add_rtn_u32 v33, v17, v33 offset:33040
.LBB5_309:                              ;   in Loop: Header=BB5_286 Depth=1
	s_or_b64 exec, exec, s[40:41]
	s_waitcnt lgkmcnt(0)
	v_readfirstlane_b32 vcc_lo, v33
	v_add_lshl_u32 v11, vcc_lo, v11, 2
	ds_write2st64_b32 v11, v10, v12 offset0:64 offset1:96
.LBB5_310:                              ;   in Loop: Header=BB5_286 Depth=1
	s_or_b64 exec, exec, s[8:9]
	v_not_b32_e32 v11, v13
	v_and_b32_e32 v11, 0x7fe00000, v11
	v_cmp_gt_i32_e32 vcc, 0, v13
	v_cndmask_b32_e32 v11, v11, v13, vcc
	v_lshrrev_b32_e32 v11, 21, v11
	v_add_u32_e32 v10, 3, v32
	v_cmp_lt_u32_e32 vcc, v11, v29
	s_and_saveexec_b64 s[8:9], vcc
	s_cbranch_execz .LBB5_314
; %bb.311:                              ;   in Loop: Header=BB5_286 Depth=1
	s_mov_b64 s[42:43], exec
	v_mbcnt_lo_u32_b32 v12, s42, 0
	v_mbcnt_hi_u32_b32 v12, s43, v12
	v_cmp_eq_u32_e32 vcc, 0, v12
                                        ; implicit-def: $vgpr33
	s_and_saveexec_b64 s[40:41], vcc
	s_cbranch_execz .LBB5_313
; %bb.312:                              ;   in Loop: Header=BB5_286 Depth=1
	s_bcnt1_i32_b64 vcc_lo, s[42:43]
	v_mov_b32_e32 v33, vcc_lo
	ds_add_rtn_u32 v33, v17, v33 offset:33048
.LBB5_313:                              ;   in Loop: Header=BB5_286 Depth=1
	s_or_b64 exec, exec, s[40:41]
	s_load_dword vcc_lo, s[36:37], 0x0
	s_waitcnt lgkmcnt(0)
	v_readfirstlane_b32 vcc_hi, v33
	v_add_u32_e32 v12, vcc_hi, v12
	v_lshl_add_u32 v12, v12, 2, vcc_lo
	ds_write_b32 v12, v10
.LBB5_314:                              ;   in Loop: Header=BB5_286 Depth=1
	s_or_b64 exec, exec, s[8:9]
	v_cmp_eq_u32_e32 vcc, v11, v29
	s_and_b64 vcc, vcc, s[34:35]
	s_and_saveexec_b64 s[8:9], vcc
	s_cbranch_execz .LBB5_285
; %bb.315:                              ;   in Loop: Header=BB5_286 Depth=1
	s_mov_b64 s[42:43], exec
	v_mbcnt_lo_u32_b32 v11, s42, 0
	v_mbcnt_hi_u32_b32 v11, s43, v11
	v_cmp_eq_u32_e32 vcc, 0, v11
                                        ; implicit-def: $vgpr12
	s_and_saveexec_b64 s[40:41], vcc
	s_cbranch_execz .LBB5_284
; %bb.316:                              ;   in Loop: Header=BB5_286 Depth=1
	s_bcnt1_i32_b64 vcc_lo, s[42:43]
	v_mov_b32_e32 v12, vcc_lo
	ds_add_rtn_u32 v12, v17, v12 offset:33040
	s_branch .LBB5_284
.LBB5_317:
	s_or_b64 exec, exec, s[30:31]
	v_cmp_gt_u32_e32 vcc, v14, v18
	s_and_saveexec_b64 s[8:9], vcc
	s_cbranch_execz .LBB5_326
; %bb.318:
	v_add_co_u32_e32 v10, vcc, v30, v19
	v_addc_co_u32_e32 v11, vcc, 0, v31, vcc
	flat_load_dword v10, v[10:11]
	s_waitcnt vmcnt(0) lgkmcnt(0)
	v_not_b32_e32 v11, v10
	v_and_b32_e32 v11, 0x7fe00000, v11
	v_cmp_gt_i32_e32 vcc, 0, v10
	v_cndmask_b32_e32 v11, v11, v10, vcc
	v_lshrrev_b32_e32 v11, 21, v11
	v_cmp_lt_u32_e32 vcc, v11, v29
	s_and_saveexec_b64 s[28:29], vcc
	s_cbranch_execz .LBB5_322
; %bb.319:
	s_mov_b64 s[34:35], exec
	v_mbcnt_lo_u32_b32 v12, s34, 0
	v_mbcnt_hi_u32_b32 v12, s35, v12
	v_cmp_eq_u32_e32 vcc, 0, v12
                                        ; implicit-def: $vgpr13
	s_and_saveexec_b64 s[30:31], vcc
	s_cbranch_execz .LBB5_321
; %bb.320:
	s_bcnt1_i32_b64 vcc_lo, s[34:35]
	v_mov_b32_e32 v13, 0
	v_mov_b32_e32 v15, vcc_lo
	ds_add_rtn_u32 v13, v13, v15 offset:33048
.LBB5_321:
	s_or_b64 exec, exec, s[30:31]
	s_ashr_i32 s53, s52, 31
	s_lshl_b64 vcc, s[52:53], 2
	s_getpc_b64 s[30:31]
	s_add_u32 s30, s30, llvm.amdgcn.dynlds.offset.table@rel32@lo+4
	s_addc_u32 s31, s31, llvm.amdgcn.dynlds.offset.table@rel32@hi+12
	s_add_u32 vcc_lo, vcc_lo, s30
	s_addc_u32 vcc_hi, vcc_hi, s31
	s_load_dword vcc_lo, vcc, 0x0
	s_waitcnt lgkmcnt(0)
	v_readfirstlane_b32 vcc_hi, v13
	v_add_u32_e32 v12, vcc_hi, v12
	v_lshl_add_u32 v12, v12, 2, vcc_lo
	ds_write_b32 v12, v18
.LBB5_322:
	s_or_b64 exec, exec, s[28:29]
	v_mov_b32_e32 v12, 0
	ds_read_b32 v12, v12 offset:33044
	v_cmp_eq_u32_e32 vcc, v11, v29
	s_waitcnt lgkmcnt(0)
	v_readfirstlane_b32 s28, v12
	s_cmpk_lt_i32 s28, 0x801
	s_cselect_b64 s[28:29], -1, 0
	s_and_b64 s[28:29], vcc, s[28:29]
	s_and_b64 exec, exec, s[28:29]
	s_cbranch_execz .LBB5_326
; %bb.323:
	s_mov_b64 s[30:31], exec
	v_mbcnt_lo_u32_b32 v11, s30, 0
	v_mbcnt_hi_u32_b32 v11, s31, v11
	v_cmp_eq_u32_e32 vcc, 0, v11
                                        ; implicit-def: $vgpr12
	s_and_saveexec_b64 s[28:29], vcc
	s_cbranch_execz .LBB5_325
; %bb.324:
	s_bcnt1_i32_b64 vcc_lo, s[30:31]
	v_mov_b32_e32 v12, 0
	v_mov_b32_e32 v13, vcc_lo
	ds_add_rtn_u32 v12, v12, v13 offset:33040
.LBB5_325:
	s_or_b64 exec, exec, s[28:29]
	s_waitcnt lgkmcnt(0)
	v_readfirstlane_b32 s28, v12
	v_add_lshl_u32 v11, s28, v11, 2
	ds_write2st64_b32 v11, v18, v10 offset0:64 offset1:96
.LBB5_326:
	s_or_b64 exec, exec, s[8:9]
	v_lshlrev_b32_e32 v10, 2, v16
	v_add3_u32 v10, v14, v18, v10
	v_cmp_lt_i32_e32 vcc, v10, v22
	s_and_saveexec_b64 s[8:9], vcc
	s_cbranch_execz .LBB5_335
; %bb.327:
	v_ashrrev_i32_e32 v11, 31, v10
	v_lshlrev_b64 v[12:13], 2, v[10:11]
	v_add_co_u32_e32 v12, vcc, v30, v12
	v_addc_co_u32_e32 v13, vcc, v31, v13, vcc
	flat_load_dword v11, v[12:13]
	s_waitcnt vmcnt(0) lgkmcnt(0)
	v_not_b32_e32 v12, v11
	v_and_b32_e32 v12, 0x7fe00000, v12
	v_cmp_gt_i32_e32 vcc, 0, v11
	v_cndmask_b32_e32 v12, v12, v11, vcc
	v_lshrrev_b32_e32 v12, 21, v12
	v_cmp_lt_u32_e32 vcc, v12, v29
	s_and_saveexec_b64 s[28:29], vcc
	s_cbranch_execz .LBB5_331
; %bb.328:
	s_mov_b64 s[34:35], exec
	v_mbcnt_lo_u32_b32 v13, s34, 0
	v_mbcnt_hi_u32_b32 v13, s35, v13
	v_cmp_eq_u32_e32 vcc, 0, v13
                                        ; implicit-def: $vgpr14
	s_and_saveexec_b64 s[30:31], vcc
	s_cbranch_execz .LBB5_330
; %bb.329:
	s_bcnt1_i32_b64 vcc_lo, s[34:35]
	v_mov_b32_e32 v14, 0
	v_mov_b32_e32 v15, vcc_lo
	ds_add_rtn_u32 v14, v14, v15 offset:33048
.LBB5_330:
	s_or_b64 exec, exec, s[30:31]
	s_ashr_i32 s53, s52, 31
	s_lshl_b64 vcc, s[52:53], 2
	s_getpc_b64 s[30:31]
	s_add_u32 s30, s30, llvm.amdgcn.dynlds.offset.table@rel32@lo+4
	s_addc_u32 s31, s31, llvm.amdgcn.dynlds.offset.table@rel32@hi+12
	s_add_u32 vcc_lo, vcc_lo, s30
	s_addc_u32 vcc_hi, vcc_hi, s31
	s_load_dword vcc_lo, vcc, 0x0
	s_waitcnt lgkmcnt(0)
	v_readfirstlane_b32 vcc_hi, v14
	v_add_u32_e32 v13, vcc_hi, v13
	v_lshl_add_u32 v13, v13, 2, vcc_lo
	ds_write_b32 v13, v10
.LBB5_331:
	s_or_b64 exec, exec, s[28:29]
	v_mov_b32_e32 v13, 0
	ds_read_b32 v13, v13 offset:33044
	v_cmp_eq_u32_e32 vcc, v12, v29
	s_waitcnt lgkmcnt(0)
	v_readfirstlane_b32 s28, v13
	s_cmpk_lt_i32 s28, 0x801
	s_cselect_b64 s[28:29], -1, 0
	s_and_b64 s[28:29], vcc, s[28:29]
	s_and_b64 exec, exec, s[28:29]
	s_cbranch_execz .LBB5_335
; %bb.332:
	s_mov_b64 s[30:31], exec
	v_mbcnt_lo_u32_b32 v12, s30, 0
	v_mbcnt_hi_u32_b32 v12, s31, v12
	v_cmp_eq_u32_e32 vcc, 0, v12
                                        ; implicit-def: $vgpr13
	s_and_saveexec_b64 s[28:29], vcc
	s_cbranch_execz .LBB5_334
; %bb.333:
	s_bcnt1_i32_b64 vcc_lo, s[30:31]
	v_mov_b32_e32 v13, 0
	v_mov_b32_e32 v14, vcc_lo
	ds_add_rtn_u32 v13, v13, v14 offset:33040
.LBB5_334:
	s_or_b64 exec, exec, s[28:29]
	s_waitcnt lgkmcnt(0)
	v_readfirstlane_b32 s28, v13
	v_add_lshl_u32 v12, s28, v12, 2
	ds_write2st64_b32 v12, v10, v11 offset0:64 offset1:96
.LBB5_335:
	s_or_b64 exec, exec, s[8:9]
.LBB5_336:
	s_or_b64 exec, exec, s[26:27]
	v_mov_b32_e32 v10, 0
	s_waitcnt lgkmcnt(0)
	s_barrier
	ds_read_b32 v10, v10 offset:33044
	s_movk_i32 s8, 0x800
	s_waitcnt lgkmcnt(0)
	v_cmp_lt_i32_e64 s[8:9], s8, v10
.LBB5_337:
	s_andn2_b64 vcc, exec, s[8:9]
	s_cbranch_vccnz .LBB5_348
; %bb.338:
	v_mov_b32_e32 v10, 0
	ds_write_b32 v28, v10 offset:2112
	ds_write_b32 v23, v10 offset:2048
	s_and_saveexec_b64 s[8:9], s[20:21]
	s_cbranch_execz .LBB5_340
; %bb.339:
	ds_write_b32 v23, v10 offset:4096
.LBB5_340:
	s_or_b64 exec, exec, s[8:9]
	s_and_saveexec_b64 s[8:9], s[18:19]
	s_cbranch_execz .LBB5_342
; %bb.341:
	v_mov_b32_e32 v10, 0
	ds_write_b32 v23, v10 offset:6144
.LBB5_342:
	s_or_b64 exec, exec, s[8:9]
	v_lshlrev_b32_e32 v30, 21, v29
	s_waitcnt lgkmcnt(0)
	s_barrier
	s_and_saveexec_b64 s[8:9], s[6:7]
	s_xor_b64 s[8:9], exec, s[8:9]
	s_cbranch_execz .LBB5_350
; %bb.343:
	v_add_u32_e32 v12, v18, v2
	v_cmp_lt_i32_e32 vcc, v12, v8
	s_and_saveexec_b64 s[26:27], vcc
	s_cbranch_execz .LBB5_349
; %bb.344:
	v_mul_lo_u32 v10, v6, v12
	v_lshlrev_b32_e32 v13, 9, v6
	s_mov_b64 s[28:29], 0
	s_mov_b32 s34, 0x200000
	v_mov_b32_e32 v14, 1
	s_branch .LBB5_346
.LBB5_345:                              ;   in Loop: Header=BB5_346 Depth=1
	s_or_b64 exec, exec, s[30:31]
	v_add_u32_e32 v12, 0x200, v12
	v_cmp_ge_i32_e32 vcc, v12, v8
	s_or_b64 s[28:29], vcc, s[28:29]
	v_add_u32_e32 v10, v10, v13
	s_andn2_b64 exec, exec, s[28:29]
	s_cbranch_execz .LBB5_349
.LBB5_346:                              ; =>This Inner Loop Header: Depth=1
	v_ashrrev_i32_e32 v11, 31, v10
	v_lshlrev_b64 v[16:17], 2, v[10:11]
	v_add_co_u32_e32 v16, vcc, v0, v16
	v_addc_co_u32_e32 v17, vcc, v1, v17, vcc
	flat_load_dword v11, v[16:17]
	s_waitcnt vmcnt(0) lgkmcnt(0)
	v_not_b32_e32 v15, v11
	v_and_b32_e32 v16, 0x7fe00000, v15
	v_cmp_gt_i32_e32 vcc, 0, v11
	v_cndmask_b32_e32 v16, v16, v11, vcc
	v_xor_b32_e32 v16, v16, v30
	v_cmp_gt_u32_e32 vcc, s34, v16
	s_and_saveexec_b64 s[30:31], vcc
	s_cbranch_execz .LBB5_345
; %bb.347:                              ;   in Loop: Header=BB5_346 Depth=1
	v_lshrrev_b32_e32 v11, 10, v11
	v_ashrrev_i32_e32 v15, 31, v15
	v_xor_b32_e32 v11, v11, v15
	v_and_b32_e32 v11, 0x7ff, v11
	v_lshlrev_b32_e32 v11, 2, v11
	ds_add_u32 v11, v14 offset:18496
	s_branch .LBB5_345
.LBB5_348:
	v_mov_b32_e32 v30, 0
	s_mov_b64 s[8:9], -1
	s_cbranch_execnz .LBB5_516
	s_branch .LBB5_551
.LBB5_349:
	s_or_b64 exec, exec, s[26:27]
.LBB5_350:
	s_andn2_saveexec_b64 s[26:27], s[8:9]
	s_cbranch_execz .LBB5_369
; %bb.351:
	v_lshlrev_b64 v[10:11], 2, v[2:3]
	v_add_co_u32_e32 v20, vcc, v0, v10
	v_and_b32_e32 v12, 15, v20
	v_addc_co_u32_e32 v21, vcc, v1, v11, vcc
	v_mov_b32_e32 v13, 0
	v_sub_u32_e32 v14, 16, v12
	v_lshrrev_b32_e32 v14, 2, v14
	v_cmp_ne_u64_e32 vcc, 0, v[12:13]
	v_cndmask_b32_e32 v12, 0, v14, vcc
	v_min_i32_e32 v14, v12, v22
	v_sub_u32_e32 v12, v22, v14
	v_ashrrev_i32_e32 v13, 31, v12
	v_lshrrev_b32_e32 v13, 30, v13
	v_add_u32_e32 v12, v12, v13
	v_ashrrev_i32_e32 v29, 2, v12
	s_mov_b64 s[28:29], 0
	v_ashrrev_i32_e32 v15, 31, v14
	v_cmp_gt_i32_e32 vcc, v29, v18
	s_and_saveexec_b64 s[30:31], vcc
	s_cbranch_execz .LBB5_362
; %bb.352:
	v_lshlrev_b32_e32 v16, 4, v18
	v_lshlrev_b64 v[12:13], 2, v[14:15]
	v_add_co_u32_e32 v12, vcc, v16, v12
	v_addc_co_u32_e32 v13, vcc, 0, v13, vcc
	v_add_co_u32_e32 v10, vcc, v12, v10
	v_addc_co_u32_e32 v11, vcc, v13, v11, vcc
	;; [unrolled: 2-line block ×3, first 2 shown]
	s_mov_b32 s34, 0x200000
	v_mov_b32_e32 v15, 1
	v_mov_b32_e32 v31, v18
	s_branch .LBB5_354
.LBB5_353:                              ;   in Loop: Header=BB5_354 Depth=1
	s_or_b64 exec, exec, s[8:9]
	v_add_u32_e32 v31, 0x200, v31
	v_add_co_u32_e32 v16, vcc, 0x2000, v16
	v_cmp_ge_i32_e64 s[8:9], v31, v29
	s_or_b64 s[28:29], s[8:9], s[28:29]
	v_addc_co_u32_e32 v17, vcc, 0, v17, vcc
	s_andn2_b64 exec, exec, s[28:29]
	s_cbranch_execz .LBB5_362
.LBB5_354:                              ; =>This Inner Loop Header: Depth=1
	flat_load_dwordx4 v[10:13], v[16:17]
	s_waitcnt vmcnt(0) lgkmcnt(0)
	v_not_b32_e32 v32, v10
	v_and_b32_e32 v33, 0x7fe00000, v32
	v_cmp_gt_i32_e32 vcc, 0, v10
	v_cndmask_b32_e32 v33, v33, v10, vcc
	v_xor_b32_e32 v33, v33, v30
	v_cmp_gt_u32_e32 vcc, s34, v33
	s_and_saveexec_b64 s[8:9], vcc
	s_cbranch_execz .LBB5_356
; %bb.355:                              ;   in Loop: Header=BB5_354 Depth=1
	v_lshrrev_b32_e32 v10, 10, v10
	v_ashrrev_i32_e32 v32, 31, v32
	v_xor_b32_e32 v10, v10, v32
	v_and_b32_e32 v10, 0x7ff, v10
	v_lshlrev_b32_e32 v10, 2, v10
	ds_add_u32 v10, v15 offset:18496
.LBB5_356:                              ;   in Loop: Header=BB5_354 Depth=1
	s_or_b64 exec, exec, s[8:9]
	v_not_b32_e32 v10, v11
	v_and_b32_e32 v32, 0x7fe00000, v10
	v_cmp_gt_i32_e32 vcc, 0, v11
	v_cndmask_b32_e32 v32, v32, v11, vcc
	v_xor_b32_e32 v32, v32, v30
	v_cmp_gt_u32_e32 vcc, s34, v32
	s_and_saveexec_b64 s[8:9], vcc
	s_cbranch_execz .LBB5_358
; %bb.357:                              ;   in Loop: Header=BB5_354 Depth=1
	v_lshrrev_b32_e32 v11, 10, v11
	v_ashrrev_i32_e32 v10, 31, v10
	v_xor_b32_e32 v10, v11, v10
	v_and_b32_e32 v10, 0x7ff, v10
	v_lshlrev_b32_e32 v10, 2, v10
	ds_add_u32 v10, v15 offset:18496
.LBB5_358:                              ;   in Loop: Header=BB5_354 Depth=1
	s_or_b64 exec, exec, s[8:9]
	;; [unrolled: 17-line block ×3, first 2 shown]
	v_not_b32_e32 v10, v13
	v_and_b32_e32 v11, 0x7fe00000, v10
	v_cmp_gt_i32_e32 vcc, 0, v13
	v_cndmask_b32_e32 v11, v11, v13, vcc
	v_xor_b32_e32 v11, v11, v30
	v_cmp_gt_u32_e32 vcc, s34, v11
	s_and_saveexec_b64 s[8:9], vcc
	s_cbranch_execz .LBB5_353
; %bb.361:                              ;   in Loop: Header=BB5_354 Depth=1
	v_lshrrev_b32_e32 v11, 10, v13
	v_ashrrev_i32_e32 v10, 31, v10
	v_xor_b32_e32 v10, v11, v10
	v_and_b32_e32 v10, 0x7ff, v10
	v_lshlrev_b32_e32 v10, 2, v10
	ds_add_u32 v10, v15 offset:18496
	s_branch .LBB5_353
.LBB5_362:
	s_or_b64 exec, exec, s[30:31]
	v_cmp_gt_u32_e32 vcc, v14, v18
	s_and_saveexec_b64 s[8:9], vcc
	s_cbranch_execz .LBB5_365
; %bb.363:
	v_add_co_u32_e32 v10, vcc, v20, v19
	v_addc_co_u32_e32 v11, vcc, 0, v21, vcc
	flat_load_dword v10, v[10:11]
	s_mov_b32 s28, 0x200000
	s_waitcnt vmcnt(0) lgkmcnt(0)
	v_not_b32_e32 v11, v10
	v_and_b32_e32 v12, 0x7fe00000, v11
	v_cmp_gt_i32_e32 vcc, 0, v10
	v_cndmask_b32_e32 v12, v12, v10, vcc
	v_xor_b32_e32 v12, v12, v30
	v_cmp_gt_u32_e32 vcc, s28, v12
	s_and_b64 exec, exec, vcc
	s_cbranch_execz .LBB5_365
; %bb.364:
	v_lshrrev_b32_e32 v10, 10, v10
	v_ashrrev_i32_e32 v11, 31, v11
	v_xor_b32_e32 v10, v10, v11
	v_and_b32_e32 v10, 0x7ff, v10
	v_lshlrev_b32_e32 v10, 2, v10
	v_mov_b32_e32 v11, 1
	ds_add_u32 v10, v11 offset:18496
.LBB5_365:
	s_or_b64 exec, exec, s[8:9]
	v_lshlrev_b32_e32 v10, 2, v29
	v_add3_u32 v10, v14, v18, v10
	v_cmp_lt_i32_e32 vcc, v10, v22
	s_and_saveexec_b64 s[8:9], vcc
	s_cbranch_execz .LBB5_368
; %bb.366:
	v_ashrrev_i32_e32 v11, 31, v10
	v_lshlrev_b64 v[10:11], 2, v[10:11]
	v_add_co_u32_e32 v10, vcc, v20, v10
	v_addc_co_u32_e32 v11, vcc, v21, v11, vcc
	flat_load_dword v10, v[10:11]
	s_mov_b32 s28, 0x200000
	s_waitcnt vmcnt(0) lgkmcnt(0)
	v_not_b32_e32 v11, v10
	v_and_b32_e32 v12, 0x7fe00000, v11
	v_cmp_gt_i32_e32 vcc, 0, v10
	v_cndmask_b32_e32 v12, v12, v10, vcc
	v_xor_b32_e32 v12, v12, v30
	v_cmp_gt_u32_e32 vcc, s28, v12
	s_and_b64 exec, exec, vcc
	s_cbranch_execz .LBB5_368
; %bb.367:
	v_lshrrev_b32_e32 v10, 10, v10
	v_ashrrev_i32_e32 v11, 31, v11
	v_xor_b32_e32 v10, v10, v11
	v_and_b32_e32 v10, 0x7ff, v10
	v_lshlrev_b32_e32 v10, 2, v10
	v_mov_b32_e32 v11, 1
	ds_add_u32 v10, v11 offset:18496
.LBB5_368:
	s_or_b64 exec, exec, s[8:9]
.LBB5_369:
	s_or_b64 exec, exec, s[26:27]
	s_waitcnt lgkmcnt(0)
	s_barrier
	v_mov_b32_e32 v11, 0
	ds_read_b32 v12, v28 offset:2112
	ds_read_b32 v10, v11 offset:33048
	s_waitcnt lgkmcnt(0)
	s_barrier
	ds_write_b32 v26, v12
	s_waitcnt lgkmcnt(0)
	s_barrier
	s_and_saveexec_b64 s[8:9], s[12:13]
	s_cbranch_execz .LBB5_371
; %bb.370:
	ds_read2_b32 v[14:15], v24 offset1:1
	ds_read2_b32 v[16:17], v24 offset0:2 offset1:3
	ds_read2_b32 v[20:21], v24 offset0:4 offset1:5
	;; [unrolled: 1-line block ×3, first 2 shown]
	v_mbcnt_lo_u32_b32 v13, -1, 0
	s_waitcnt lgkmcnt(3)
	v_add_u32_e32 v29, v15, v14
	s_waitcnt lgkmcnt(2)
	v_add3_u32 v29, v29, v16, v17
	s_waitcnt lgkmcnt(1)
	v_add3_u32 v29, v29, v20, v21
	v_mbcnt_hi_u32_b32 v13, -1, v13
	s_waitcnt lgkmcnt(0)
	v_add3_u32 v29, v29, v32, v33
	v_and_b32_e32 v31, 15, v13
	v_cmp_ne_u32_e32 vcc, 0, v31
	v_mov_b32_dpp v34, v29 row_shr:1 row_mask:0xf bank_mask:0xf
	v_cndmask_b32_e32 v34, 0, v34, vcc
	v_add_u32_e32 v29, v34, v29
	v_cmp_lt_u32_e32 vcc, 1, v31
	s_nop 0
	v_mov_b32_dpp v34, v29 row_shr:2 row_mask:0xf bank_mask:0xf
	v_cndmask_b32_e32 v34, 0, v34, vcc
	v_add_u32_e32 v29, v29, v34
	v_cmp_lt_u32_e32 vcc, 3, v31
	s_nop 0
	;; [unrolled: 5-line block ×3, first 2 shown]
	v_mov_b32_dpp v34, v29 row_shr:8 row_mask:0xf bank_mask:0xf
	v_cndmask_b32_e32 v31, 0, v34, vcc
	v_add_u32_e32 v29, v29, v31
	v_bfe_i32 v34, v13, 4, 1
	v_cmp_lt_u32_e32 vcc, 31, v13
	v_mov_b32_dpp v31, v29 row_bcast:15 row_mask:0xf bank_mask:0xf
	v_and_b32_e32 v31, v34, v31
	v_add_u32_e32 v29, v29, v31
	v_and_b32_e32 v34, 64, v13
	s_nop 0
	v_mov_b32_dpp v31, v29 row_bcast:31 row_mask:0xf bank_mask:0xf
	v_cndmask_b32_e32 v31, 0, v31, vcc
	v_add_u32_e32 v29, v29, v31
	v_add_u32_e32 v31, -1, v13
	v_cmp_lt_i32_e32 vcc, v31, v34
	v_cndmask_b32_e32 v13, v31, v13, vcc
	v_lshlrev_b32_e32 v13, 2, v13
	ds_bpermute_b32 v13, v13, v29
	s_waitcnt lgkmcnt(0)
	v_add_u32_e32 v13, v13, v14
	v_cndmask_b32_e64 v12, v13, v12, s[10:11]
	v_add_u32_e32 v13, v12, v15
	ds_write2_b32 v24, v12, v13 offset1:1
	v_add_u32_e32 v12, v13, v16
	v_add_u32_e32 v13, v12, v17
	ds_write2_b32 v24, v12, v13 offset0:2 offset1:3
	v_add_u32_e32 v12, v13, v20
	v_add_u32_e32 v13, v12, v21
	ds_write2_b32 v24, v12, v13 offset0:4 offset1:5
	;; [unrolled: 3-line block ×3, first 2 shown]
.LBB5_371:
	s_or_b64 exec, exec, s[8:9]
	s_waitcnt lgkmcnt(0)
	s_barrier
	s_and_saveexec_b64 s[8:9], s[24:25]
	s_cbranch_execz .LBB5_373
; %bb.372:
	ds_read_b32 v11, v25
.LBB5_373:
	s_or_b64 exec, exec, s[8:9]
	v_mov_b32_e32 v12, 0
	ds_read_b32 v13, v12 offset:18488
	s_waitcnt lgkmcnt(1)
	v_add_u32_e32 v11, v11, v10
	v_cmp_lt_i32_e32 vcc, v11, v7
	ds_write_b32 v28, v11 offset:2112
	s_waitcnt lgkmcnt(0)
	v_add_u32_e32 v10, v13, v10
	s_barrier
	s_and_saveexec_b64 s[8:9], vcc
	s_cbranch_execz .LBB5_379
; %bb.374:
	v_mov_b32_e32 v13, v10
	s_and_saveexec_b64 s[26:27], s[14:15]
	s_cbranch_execz .LBB5_376
; %bb.375:
	ds_read_b32 v13, v23 offset:4
.LBB5_376:
	s_or_b64 exec, exec, s[26:27]
	s_waitcnt lgkmcnt(0)
	v_cmp_ge_i32_e32 vcc, v13, v7
	v_mov_b32_e32 v12, 0
	s_and_saveexec_b64 s[26:27], vcc
	s_cbranch_execz .LBB5_378
; %bb.377:
	s_mov_b32 s28, 0x8000
	v_sub_u32_e32 v11, v13, v11
	v_add_u32_e64 v12, s28, 0
	ds_write2_b32 v12, v11, v18 offset0:69 offset1:71
	v_mov_b32_e32 v12, 1
.LBB5_378:
	s_or_b64 exec, exec, s[26:27]
.LBB5_379:
	s_or_b64 exec, exec, s[8:9]
	v_or_b32_dpp v11, v12, v12 row_shl:1 row_mask:0xf bank_mask:0xf bound_ctrl:1
	s_bitcmp1_b32 exec_hi, 0
	s_nop 0
	v_or_b32_dpp v11, v11, v11 row_shl:2 row_mask:0xf bank_mask:0xf bound_ctrl:1
	s_nop 1
	v_or_b32_dpp v11, v11, v11 row_shl:4 row_mask:0xf bank_mask:0xf bound_ctrl:1
	;; [unrolled: 2-line block ×3, first 2 shown]
	s_nop 1
	v_mov_b32_dpp v12, v11 wave_shl:1 row_mask:0xf bank_mask:0xf bound_ctrl:1
	s_nop 1
	v_or_b32_dpp v11, v12, v11 row_mirror row_mask:0xf bank_mask:0xf bound_ctrl:1
	v_readlane_b32 s8, v11, 32
	s_cselect_b32 s8, s8, 0
	v_readlane_b32 s9, v11, 0
	s_or_b32 s28, s8, s9
	v_cndmask_b32_e64 v11, 0, 1, s[56:57]
	v_cmp_ne_u32_e64 s[8:9], 1, v11
	s_andn2_b64 vcc, exec, s[56:57]
	v_mov_b32_e32 v11, s28
	s_cbranch_vccnz .LBB5_386
; %bb.380:
	v_mbcnt_lo_u32_b32 v11, -1, 0
	v_mbcnt_hi_u32_b32 v11, -1, v11
	v_or_b32_e32 v12, v11, v27
	v_cmp_eq_u32_e32 vcc, 0, v12
	s_and_saveexec_b64 s[26:27], vcc
	s_cbranch_execz .LBB5_382
; %bb.381:
	v_mov_b32_e32 v12, 0
	v_mov_b32_e32 v13, s28
	ds_write_b32 v12, v13 offset:32768
.LBB5_382:
	s_or_b64 exec, exec, s[26:27]
	v_cmp_eq_u32_e32 vcc, 0, v11
	s_and_b64 vcc, s[16:17], vcc
	s_waitcnt lgkmcnt(0)
	s_barrier
	s_and_saveexec_b64 s[26:27], vcc
	s_cbranch_execz .LBB5_385
; %bb.383:
	v_mbcnt_lo_u32_b32 v11, exec_lo, 0
	v_mbcnt_hi_u32_b32 v11, exec_hi, v11
	v_cmp_eq_u32_e32 vcc, 0, v11
	s_and_b64 exec, exec, vcc
	s_cbranch_execz .LBB5_385
; %bb.384:
	v_mov_b32_e32 v11, 0
	v_mov_b32_e32 v12, s28
	ds_or_b32 v11, v12 offset:32768
.LBB5_385:
	s_or_b64 exec, exec, s[26:27]
	v_mov_b32_e32 v11, 0
	s_waitcnt lgkmcnt(0)
	s_barrier
	ds_read_b32 v11, v11 offset:32768
	s_waitcnt lgkmcnt(0)
	s_barrier
.LBB5_386:
	v_cmp_eq_u32_e32 vcc, 0, v11
	s_cbranch_vccz .LBB5_440
; %bb.387:
	ds_read_b32 v11, v23 offset:2048
	s_waitcnt lgkmcnt(0)
	s_barrier
	ds_write_b32 v26, v11
	s_waitcnt lgkmcnt(0)
	s_barrier
	s_and_saveexec_b64 s[26:27], s[12:13]
	s_cbranch_execz .LBB5_389
; %bb.388:
	ds_read2_b32 v[12:13], v24 offset1:1
	ds_read2_b32 v[14:15], v24 offset0:2 offset1:3
	ds_read2_b32 v[16:17], v24 offset0:4 offset1:5
	;; [unrolled: 1-line block ×3, first 2 shown]
	v_mbcnt_lo_u32_b32 v29, -1, 0
	s_waitcnt lgkmcnt(3)
	v_add_u32_e32 v31, v13, v12
	s_waitcnt lgkmcnt(2)
	v_add3_u32 v31, v31, v14, v15
	s_waitcnt lgkmcnt(1)
	v_add3_u32 v31, v31, v16, v17
	v_mbcnt_hi_u32_b32 v29, -1, v29
	s_waitcnt lgkmcnt(0)
	v_add3_u32 v31, v31, v20, v21
	v_and_b32_e32 v32, 15, v29
	v_cmp_ne_u32_e32 vcc, 0, v32
	v_mov_b32_dpp v33, v31 row_shr:1 row_mask:0xf bank_mask:0xf
	v_cndmask_b32_e32 v33, 0, v33, vcc
	v_add_u32_e32 v31, v33, v31
	v_cmp_lt_u32_e32 vcc, 1, v32
	s_nop 0
	v_mov_b32_dpp v33, v31 row_shr:2 row_mask:0xf bank_mask:0xf
	v_cndmask_b32_e32 v33, 0, v33, vcc
	v_add_u32_e32 v31, v31, v33
	v_cmp_lt_u32_e32 vcc, 3, v32
	s_nop 0
	v_mov_b32_dpp v33, v31 row_shr:4 row_mask:0xf bank_mask:0xf
	v_cndmask_b32_e32 v33, 0, v33, vcc
	v_add_u32_e32 v31, v31, v33
	v_cmp_lt_u32_e32 vcc, 7, v32
	s_nop 0
	v_mov_b32_dpp v33, v31 row_shr:8 row_mask:0xf bank_mask:0xf
	v_cndmask_b32_e32 v32, 0, v33, vcc
	v_add_u32_e32 v31, v31, v32
	v_bfe_i32 v33, v29, 4, 1
	v_cmp_lt_u32_e32 vcc, 31, v29
	v_mov_b32_dpp v32, v31 row_bcast:15 row_mask:0xf bank_mask:0xf
	v_and_b32_e32 v32, v33, v32
	v_add_u32_e32 v31, v31, v32
	v_and_b32_e32 v33, 64, v29
	s_nop 0
	v_mov_b32_dpp v32, v31 row_bcast:31 row_mask:0xf bank_mask:0xf
	v_cndmask_b32_e32 v32, 0, v32, vcc
	v_add_u32_e32 v31, v31, v32
	v_add_u32_e32 v32, -1, v29
	v_cmp_lt_i32_e32 vcc, v32, v33
	v_cndmask_b32_e32 v29, v32, v29, vcc
	v_lshlrev_b32_e32 v29, 2, v29
	ds_bpermute_b32 v29, v29, v31
	s_waitcnt lgkmcnt(0)
	v_add_u32_e32 v12, v29, v12
	v_cndmask_b32_e64 v11, v12, v11, s[10:11]
	v_add_u32_e32 v12, v11, v13
	ds_write2_b32 v24, v11, v12 offset1:1
	v_add_u32_e32 v11, v12, v14
	v_add_u32_e32 v12, v11, v15
	ds_write2_b32 v24, v11, v12 offset0:2 offset1:3
	v_add_u32_e32 v11, v12, v16
	v_add_u32_e32 v12, v11, v17
	ds_write2_b32 v24, v11, v12 offset0:4 offset1:5
	;; [unrolled: 3-line block ×3, first 2 shown]
.LBB5_389:
	s_or_b64 exec, exec, s[26:27]
	v_mov_b32_e32 v11, 0
	v_mov_b32_e32 v12, 0
	s_waitcnt lgkmcnt(0)
	s_barrier
	s_and_saveexec_b64 s[26:27], s[24:25]
	s_cbranch_execz .LBB5_391
; %bb.390:
	ds_read_b32 v12, v25
.LBB5_391:
	s_or_b64 exec, exec, s[26:27]
	ds_read_b32 v13, v11 offset:18488
	s_waitcnt lgkmcnt(1)
	v_add_u32_e32 v12, v12, v10
	v_cmp_lt_i32_e32 vcc, v12, v7
	ds_write_b32 v23, v12 offset:2048
	s_waitcnt lgkmcnt(0)
	v_add_u32_e32 v10, v13, v10
	s_barrier
	s_and_saveexec_b64 s[26:27], vcc
	s_cbranch_execz .LBB5_397
; %bb.392:
	v_mov_b32_e32 v13, v10
	s_and_saveexec_b64 s[28:29], s[14:15]
	s_cbranch_execz .LBB5_394
; %bb.393:
	ds_read_b32 v13, v23 offset:2052
.LBB5_394:
	s_or_b64 exec, exec, s[28:29]
	s_waitcnt lgkmcnt(0)
	v_cmp_ge_i32_e32 vcc, v13, v7
	v_mov_b32_e32 v11, 0
	s_and_saveexec_b64 s[28:29], vcc
	s_cbranch_execz .LBB5_396
; %bb.395:
	s_mov_b32 vcc_lo, 0x8000
	v_add_u32_e32 v11, 0x200, v18
	v_sub_u32_e32 v12, v13, v12
	v_add_u32_e64 v13, vcc_lo, 0
	ds_write2_b32 v13, v12, v11 offset0:69 offset1:71
	v_mov_b32_e32 v11, 1
.LBB5_396:
	s_or_b64 exec, exec, s[28:29]
.LBB5_397:
	s_or_b64 exec, exec, s[26:27]
	v_or_b32_dpp v11, v11, v11 row_shl:1 row_mask:0xf bank_mask:0xf bound_ctrl:1
	s_bitcmp1_b32 exec_hi, 0
	s_nop 0
	v_or_b32_dpp v11, v11, v11 row_shl:2 row_mask:0xf bank_mask:0xf bound_ctrl:1
	s_nop 1
	v_or_b32_dpp v11, v11, v11 row_shl:4 row_mask:0xf bank_mask:0xf bound_ctrl:1
	;; [unrolled: 2-line block ×3, first 2 shown]
	s_nop 1
	v_mov_b32_dpp v12, v11 wave_shl:1 row_mask:0xf bank_mask:0xf bound_ctrl:1
	s_nop 1
	v_or_b32_dpp v11, v12, v11 row_mirror row_mask:0xf bank_mask:0xf bound_ctrl:1
	v_readlane_b32 s26, v11, 32
	s_cselect_b32 s26, s26, 0
	v_readlane_b32 s27, v11, 0
	s_or_b32 s28, s26, s27
	s_and_b64 vcc, exec, s[8:9]
	v_mov_b32_e32 v11, s28
	s_cbranch_vccnz .LBB5_404
; %bb.398:
	v_mbcnt_lo_u32_b32 v11, -1, 0
	v_mbcnt_hi_u32_b32 v11, -1, v11
	v_or_b32_e32 v12, v11, v27
	v_cmp_eq_u32_e32 vcc, 0, v12
	s_and_saveexec_b64 s[26:27], vcc
	s_cbranch_execz .LBB5_400
; %bb.399:
	v_mov_b32_e32 v12, 0
	v_mov_b32_e32 v13, s28
	ds_write_b32 v12, v13 offset:32768
.LBB5_400:
	s_or_b64 exec, exec, s[26:27]
	v_cmp_eq_u32_e32 vcc, 0, v11
	s_and_b64 vcc, s[16:17], vcc
	s_waitcnt lgkmcnt(0)
	s_barrier
	s_and_saveexec_b64 s[26:27], vcc
	s_cbranch_execz .LBB5_403
; %bb.401:
	v_mbcnt_lo_u32_b32 v11, exec_lo, 0
	v_mbcnt_hi_u32_b32 v11, exec_hi, v11
	v_cmp_eq_u32_e32 vcc, 0, v11
	s_and_b64 exec, exec, vcc
	s_cbranch_execz .LBB5_403
; %bb.402:
	v_mov_b32_e32 v11, 0
	v_mov_b32_e32 v12, s28
	ds_or_b32 v11, v12 offset:32768
.LBB5_403:
	s_or_b64 exec, exec, s[26:27]
	v_mov_b32_e32 v11, 0
	s_waitcnt lgkmcnt(0)
	s_barrier
	ds_read_b32 v11, v11 offset:32768
	s_waitcnt lgkmcnt(0)
	s_barrier
.LBB5_404:
	v_cmp_ne_u32_e32 vcc, 0, v11
	s_cbranch_vccnz .LBB5_440
; %bb.405:
	ds_read_b32 v11, v23 offset:4096
	s_waitcnt lgkmcnt(0)
	s_barrier
	ds_write_b32 v26, v11
	s_waitcnt lgkmcnt(0)
	s_barrier
	s_and_saveexec_b64 s[26:27], s[12:13]
	s_cbranch_execz .LBB5_407
; %bb.406:
	ds_read2_b32 v[12:13], v24 offset1:1
	ds_read2_b32 v[14:15], v24 offset0:2 offset1:3
	ds_read2_b32 v[16:17], v24 offset0:4 offset1:5
	;; [unrolled: 1-line block ×3, first 2 shown]
	v_mbcnt_lo_u32_b32 v29, -1, 0
	s_waitcnt lgkmcnt(3)
	v_add_u32_e32 v31, v13, v12
	s_waitcnt lgkmcnt(2)
	v_add3_u32 v31, v31, v14, v15
	s_waitcnt lgkmcnt(1)
	v_add3_u32 v31, v31, v16, v17
	v_mbcnt_hi_u32_b32 v29, -1, v29
	s_waitcnt lgkmcnt(0)
	v_add3_u32 v31, v31, v20, v21
	v_and_b32_e32 v32, 15, v29
	v_cmp_ne_u32_e32 vcc, 0, v32
	v_mov_b32_dpp v33, v31 row_shr:1 row_mask:0xf bank_mask:0xf
	v_cndmask_b32_e32 v33, 0, v33, vcc
	v_add_u32_e32 v31, v33, v31
	v_cmp_lt_u32_e32 vcc, 1, v32
	s_nop 0
	v_mov_b32_dpp v33, v31 row_shr:2 row_mask:0xf bank_mask:0xf
	v_cndmask_b32_e32 v33, 0, v33, vcc
	v_add_u32_e32 v31, v31, v33
	v_cmp_lt_u32_e32 vcc, 3, v32
	s_nop 0
	;; [unrolled: 5-line block ×3, first 2 shown]
	v_mov_b32_dpp v33, v31 row_shr:8 row_mask:0xf bank_mask:0xf
	v_cndmask_b32_e32 v32, 0, v33, vcc
	v_add_u32_e32 v31, v31, v32
	v_bfe_i32 v33, v29, 4, 1
	v_cmp_lt_u32_e32 vcc, 31, v29
	v_mov_b32_dpp v32, v31 row_bcast:15 row_mask:0xf bank_mask:0xf
	v_and_b32_e32 v32, v33, v32
	v_add_u32_e32 v31, v31, v32
	v_and_b32_e32 v33, 64, v29
	s_nop 0
	v_mov_b32_dpp v32, v31 row_bcast:31 row_mask:0xf bank_mask:0xf
	v_cndmask_b32_e32 v32, 0, v32, vcc
	v_add_u32_e32 v31, v31, v32
	v_add_u32_e32 v32, -1, v29
	v_cmp_lt_i32_e32 vcc, v32, v33
	v_cndmask_b32_e32 v29, v32, v29, vcc
	v_lshlrev_b32_e32 v29, 2, v29
	ds_bpermute_b32 v29, v29, v31
	s_waitcnt lgkmcnt(0)
	v_add_u32_e32 v12, v29, v12
	v_cndmask_b32_e64 v11, v12, v11, s[10:11]
	v_add_u32_e32 v12, v11, v13
	ds_write2_b32 v24, v11, v12 offset1:1
	v_add_u32_e32 v11, v12, v14
	v_add_u32_e32 v12, v11, v15
	ds_write2_b32 v24, v11, v12 offset0:2 offset1:3
	v_add_u32_e32 v11, v12, v16
	v_add_u32_e32 v12, v11, v17
	ds_write2_b32 v24, v11, v12 offset0:4 offset1:5
	;; [unrolled: 3-line block ×3, first 2 shown]
.LBB5_407:
	s_or_b64 exec, exec, s[26:27]
	v_mov_b32_e32 v11, 0
	v_mov_b32_e32 v12, 0
	s_waitcnt lgkmcnt(0)
	s_barrier
	s_and_saveexec_b64 s[26:27], s[24:25]
	s_cbranch_execz .LBB5_409
; %bb.408:
	ds_read_b32 v12, v25
.LBB5_409:
	s_or_b64 exec, exec, s[26:27]
	ds_read_b32 v13, v11 offset:18488
	s_waitcnt lgkmcnt(1)
	v_add_u32_e32 v12, v12, v10
	v_cmp_lt_i32_e32 vcc, v12, v7
	ds_write_b32 v23, v12 offset:4096
	s_waitcnt lgkmcnt(0)
	v_add_u32_e32 v10, v13, v10
	s_barrier
	s_and_saveexec_b64 s[26:27], vcc
	s_cbranch_execz .LBB5_415
; %bb.410:
	v_mov_b32_e32 v13, v10
	s_and_saveexec_b64 s[28:29], s[14:15]
	s_cbranch_execz .LBB5_412
; %bb.411:
	ds_read_b32 v13, v23 offset:4100
.LBB5_412:
	s_or_b64 exec, exec, s[28:29]
	s_waitcnt lgkmcnt(0)
	v_cmp_ge_i32_e32 vcc, v13, v7
	v_mov_b32_e32 v11, 0
	s_and_saveexec_b64 s[28:29], vcc
	s_cbranch_execz .LBB5_414
; %bb.413:
	s_mov_b32 vcc_lo, 0x8000
	v_or_b32_e32 v11, 0x400, v18
	v_sub_u32_e32 v12, v13, v12
	v_add_u32_e64 v13, vcc_lo, 0
	ds_write2_b32 v13, v12, v11 offset0:69 offset1:71
	v_mov_b32_e32 v11, 1
.LBB5_414:
	s_or_b64 exec, exec, s[28:29]
.LBB5_415:
	s_or_b64 exec, exec, s[26:27]
	v_or_b32_dpp v11, v11, v11 row_shl:1 row_mask:0xf bank_mask:0xf bound_ctrl:1
	s_bitcmp1_b32 exec_hi, 0
	s_nop 0
	v_or_b32_dpp v11, v11, v11 row_shl:2 row_mask:0xf bank_mask:0xf bound_ctrl:1
	s_nop 1
	v_or_b32_dpp v11, v11, v11 row_shl:4 row_mask:0xf bank_mask:0xf bound_ctrl:1
	;; [unrolled: 2-line block ×3, first 2 shown]
	s_nop 1
	v_mov_b32_dpp v12, v11 wave_shl:1 row_mask:0xf bank_mask:0xf bound_ctrl:1
	s_nop 1
	v_or_b32_dpp v11, v12, v11 row_mirror row_mask:0xf bank_mask:0xf bound_ctrl:1
	v_readlane_b32 s26, v11, 32
	s_cselect_b32 s26, s26, 0
	v_readlane_b32 s27, v11, 0
	s_or_b32 s28, s26, s27
	s_and_b64 vcc, exec, s[8:9]
	v_mov_b32_e32 v11, s28
	s_cbranch_vccnz .LBB5_422
; %bb.416:
	v_mbcnt_lo_u32_b32 v11, -1, 0
	v_mbcnt_hi_u32_b32 v11, -1, v11
	v_or_b32_e32 v12, v11, v27
	v_cmp_eq_u32_e32 vcc, 0, v12
	s_and_saveexec_b64 s[26:27], vcc
	s_cbranch_execz .LBB5_418
; %bb.417:
	v_mov_b32_e32 v12, 0
	v_mov_b32_e32 v13, s28
	ds_write_b32 v12, v13 offset:32768
.LBB5_418:
	s_or_b64 exec, exec, s[26:27]
	v_cmp_eq_u32_e32 vcc, 0, v11
	s_and_b64 vcc, s[16:17], vcc
	s_waitcnt lgkmcnt(0)
	s_barrier
	s_and_saveexec_b64 s[26:27], vcc
	s_cbranch_execz .LBB5_421
; %bb.419:
	v_mbcnt_lo_u32_b32 v11, exec_lo, 0
	v_mbcnt_hi_u32_b32 v11, exec_hi, v11
	v_cmp_eq_u32_e32 vcc, 0, v11
	s_and_b64 exec, exec, vcc
	s_cbranch_execz .LBB5_421
; %bb.420:
	v_mov_b32_e32 v11, 0
	v_mov_b32_e32 v12, s28
	ds_or_b32 v11, v12 offset:32768
.LBB5_421:
	s_or_b64 exec, exec, s[26:27]
	v_mov_b32_e32 v11, 0
	s_waitcnt lgkmcnt(0)
	s_barrier
	ds_read_b32 v11, v11 offset:32768
	s_waitcnt lgkmcnt(0)
	s_barrier
.LBB5_422:
	v_cmp_ne_u32_e32 vcc, 0, v11
	s_cbranch_vccnz .LBB5_440
; %bb.423:
	ds_read_b32 v11, v23 offset:6144
	s_waitcnt lgkmcnt(0)
	s_barrier
	ds_write_b32 v26, v11
	s_waitcnt lgkmcnt(0)
	s_barrier
	s_and_saveexec_b64 s[26:27], s[12:13]
	s_cbranch_execz .LBB5_425
; %bb.424:
	ds_read2_b32 v[12:13], v24 offset1:1
	ds_read2_b32 v[14:15], v24 offset0:2 offset1:3
	ds_read2_b32 v[16:17], v24 offset0:4 offset1:5
	ds_read2_b32 v[20:21], v24 offset0:6 offset1:7
	v_mbcnt_lo_u32_b32 v29, -1, 0
	s_waitcnt lgkmcnt(3)
	v_add_u32_e32 v31, v13, v12
	s_waitcnt lgkmcnt(2)
	v_add3_u32 v31, v31, v14, v15
	s_waitcnt lgkmcnt(1)
	v_add3_u32 v31, v31, v16, v17
	v_mbcnt_hi_u32_b32 v29, -1, v29
	s_waitcnt lgkmcnt(0)
	v_add3_u32 v31, v31, v20, v21
	v_and_b32_e32 v32, 15, v29
	v_cmp_ne_u32_e32 vcc, 0, v32
	v_mov_b32_dpp v33, v31 row_shr:1 row_mask:0xf bank_mask:0xf
	v_cndmask_b32_e32 v33, 0, v33, vcc
	v_add_u32_e32 v31, v33, v31
	v_cmp_lt_u32_e32 vcc, 1, v32
	s_nop 0
	v_mov_b32_dpp v33, v31 row_shr:2 row_mask:0xf bank_mask:0xf
	v_cndmask_b32_e32 v33, 0, v33, vcc
	v_add_u32_e32 v31, v31, v33
	v_cmp_lt_u32_e32 vcc, 3, v32
	s_nop 0
	;; [unrolled: 5-line block ×3, first 2 shown]
	v_mov_b32_dpp v33, v31 row_shr:8 row_mask:0xf bank_mask:0xf
	v_cndmask_b32_e32 v32, 0, v33, vcc
	v_add_u32_e32 v31, v31, v32
	v_bfe_i32 v33, v29, 4, 1
	v_cmp_lt_u32_e32 vcc, 31, v29
	v_mov_b32_dpp v32, v31 row_bcast:15 row_mask:0xf bank_mask:0xf
	v_and_b32_e32 v32, v33, v32
	v_add_u32_e32 v31, v31, v32
	v_and_b32_e32 v33, 64, v29
	s_nop 0
	v_mov_b32_dpp v32, v31 row_bcast:31 row_mask:0xf bank_mask:0xf
	v_cndmask_b32_e32 v32, 0, v32, vcc
	v_add_u32_e32 v31, v31, v32
	v_add_u32_e32 v32, -1, v29
	v_cmp_lt_i32_e32 vcc, v32, v33
	v_cndmask_b32_e32 v29, v32, v29, vcc
	v_lshlrev_b32_e32 v29, 2, v29
	ds_bpermute_b32 v29, v29, v31
	s_waitcnt lgkmcnt(0)
	v_add_u32_e32 v12, v29, v12
	v_cndmask_b32_e64 v11, v12, v11, s[10:11]
	v_add_u32_e32 v12, v11, v13
	ds_write2_b32 v24, v11, v12 offset1:1
	v_add_u32_e32 v11, v12, v14
	v_add_u32_e32 v12, v11, v15
	ds_write2_b32 v24, v11, v12 offset0:2 offset1:3
	v_add_u32_e32 v11, v12, v16
	v_add_u32_e32 v12, v11, v17
	ds_write2_b32 v24, v11, v12 offset0:4 offset1:5
	;; [unrolled: 3-line block ×3, first 2 shown]
.LBB5_425:
	s_or_b64 exec, exec, s[26:27]
	v_mov_b32_e32 v11, 0
	v_mov_b32_e32 v12, 0
	s_waitcnt lgkmcnt(0)
	s_barrier
	s_and_saveexec_b64 s[26:27], s[24:25]
	s_cbranch_execz .LBB5_427
; %bb.426:
	ds_read_b32 v12, v25
.LBB5_427:
	s_or_b64 exec, exec, s[26:27]
	ds_read_b32 v13, v11 offset:18488
	s_waitcnt lgkmcnt(1)
	v_add_u32_e32 v12, v12, v10
	v_cmp_lt_i32_e32 vcc, v12, v7
	ds_write_b32 v23, v12 offset:6144
	s_waitcnt lgkmcnt(0)
	s_barrier
	s_and_saveexec_b64 s[26:27], vcc
	s_cbranch_execz .LBB5_433
; %bb.428:
	v_add_u32_e32 v10, v13, v10
	s_and_saveexec_b64 s[28:29], s[14:15]
	s_cbranch_execz .LBB5_430
; %bb.429:
	ds_read_b32 v10, v23 offset:6148
.LBB5_430:
	s_or_b64 exec, exec, s[28:29]
	s_waitcnt lgkmcnt(0)
	v_cmp_ge_i32_e32 vcc, v10, v7
	v_mov_b32_e32 v11, 0
	s_and_saveexec_b64 s[28:29], vcc
	s_cbranch_execz .LBB5_432
; %bb.431:
	s_mov_b32 vcc_lo, 0x8000
	v_add_u32_e32 v11, 0x600, v18
	v_sub_u32_e32 v10, v10, v12
	v_add_u32_e64 v12, vcc_lo, 0
	ds_write2_b32 v12, v10, v11 offset0:69 offset1:71
	v_mov_b32_e32 v11, 1
.LBB5_432:
	s_or_b64 exec, exec, s[28:29]
.LBB5_433:
	s_or_b64 exec, exec, s[26:27]
	v_or_b32_dpp v10, v11, v11 row_shl:1 row_mask:0xf bank_mask:0xf bound_ctrl:1
	s_and_b64 vcc, exec, s[8:9]
	s_nop 0
	v_or_b32_dpp v10, v10, v10 row_shl:2 row_mask:0xf bank_mask:0xf bound_ctrl:1
	s_nop 1
	v_or_b32_dpp v10, v10, v10 row_shl:4 row_mask:0xf bank_mask:0xf bound_ctrl:1
	;; [unrolled: 2-line block ×3, first 2 shown]
	s_nop 1
	v_mov_b32_dpp v11, v10 wave_shl:1 row_mask:0xf bank_mask:0xf bound_ctrl:1
	s_nop 1
	v_or_b32_dpp v10, v11, v10 row_mirror row_mask:0xf bank_mask:0xf bound_ctrl:1
	v_readlane_b32 s26, v10, 32
	v_readlane_b32 s8, v10, 0
	s_cbranch_vccnz .LBB5_440
; %bb.434:
	v_mbcnt_lo_u32_b32 v10, -1, 0
	s_bitcmp1_b32 exec_hi, 0
	v_mbcnt_hi_u32_b32 v10, -1, v10
	s_cselect_b32 s9, s26, 0
	v_or_b32_e32 v11, v10, v27
	s_or_b32 s26, s9, s8
	v_cmp_eq_u32_e32 vcc, 0, v11
	s_and_saveexec_b64 s[8:9], vcc
	s_cbranch_execz .LBB5_436
; %bb.435:
	v_mov_b32_e32 v11, 0
	v_mov_b32_e32 v12, s26
	ds_write_b32 v11, v12 offset:32768
.LBB5_436:
	s_or_b64 exec, exec, s[8:9]
	v_cmp_eq_u32_e32 vcc, 0, v10
	s_and_b64 s[28:29], s[16:17], vcc
	s_waitcnt lgkmcnt(0)
	s_barrier
	s_and_saveexec_b64 s[8:9], s[28:29]
	s_cbranch_execz .LBB5_439
; %bb.437:
	v_mbcnt_lo_u32_b32 v10, exec_lo, 0
	v_mbcnt_hi_u32_b32 v10, exec_hi, v10
	v_cmp_eq_u32_e32 vcc, 0, v10
	s_and_b64 exec, exec, vcc
	s_cbranch_execz .LBB5_439
; %bb.438:
	v_mov_b32_e32 v10, 0
	v_mov_b32_e32 v11, s26
	ds_or_b32 v10, v11 offset:32768
.LBB5_439:
	s_or_b64 exec, exec, s[8:9]
	v_mov_b32_e32 v10, 0
	s_waitcnt lgkmcnt(0)
	s_barrier
	ds_read_b32 v10, v10 offset:32768
	s_waitcnt lgkmcnt(0)
	s_barrier
.LBB5_440:
	v_mov_b32_e32 v10, 0
	s_waitcnt lgkmcnt(0)
	s_barrier
	ds_read_b32 v29, v10 offset:33052
	s_and_saveexec_b64 s[8:9], s[6:7]
	s_xor_b64 s[8:9], exec, s[8:9]
	s_cbranch_execz .LBB5_454
; %bb.441:
	v_add_u32_e32 v12, v18, v2
	v_cmp_lt_i32_e32 vcc, v12, v8
	s_and_saveexec_b64 s[26:27], vcc
	s_cbranch_execz .LBB5_453
; %bb.442:
	v_mov_b32_e32 v13, 0
	ds_read_b32 v11, v13 offset:33044
	v_mul_lo_u32 v10, v6, v12
	v_lshlrev_b32_e32 v14, 9, v6
	s_mov_b64 s[34:35], 0
	s_mov_b32 s44, 0x200000
	s_waitcnt lgkmcnt(0)
	v_readfirstlane_b32 s28, v11
	s_cmpk_lt_i32 s28, 0x801
	s_cselect_b64 s[28:29], -1, 0
	s_ashr_i32 s53, s52, 31
	s_getpc_b64 vcc
	s_add_u32 vcc_lo, vcc_lo, llvm.amdgcn.dynlds.offset.table@rel32@lo+4
	s_addc_u32 vcc_hi, vcc_hi, llvm.amdgcn.dynlds.offset.table@rel32@hi+12
	s_lshl_b64 s[30:31], s[52:53], 2
	s_add_u32 s30, s30, vcc_lo
	s_addc_u32 s31, s31, vcc_hi
	s_branch .LBB5_445
.LBB5_443:                              ;   in Loop: Header=BB5_445 Depth=1
	s_or_b64 exec, exec, s[38:39]
	s_waitcnt lgkmcnt(0)
	v_readfirstlane_b32 vcc_lo, v16
	v_add_lshl_u32 v15, vcc_lo, v15, 2
	ds_write2st64_b32 v15, v12, v11 offset0:64 offset1:96
.LBB5_444:                              ;   in Loop: Header=BB5_445 Depth=1
	s_or_b64 exec, exec, s[36:37]
	v_add_u32_e32 v12, 0x200, v12
	v_cmp_ge_i32_e32 vcc, v12, v8
	s_or_b64 s[34:35], vcc, s[34:35]
	v_add_u32_e32 v10, v10, v14
	s_andn2_b64 exec, exec, s[34:35]
	s_cbranch_execz .LBB5_453
.LBB5_445:                              ; =>This Inner Loop Header: Depth=1
	v_ashrrev_i32_e32 v11, 31, v10
	v_lshlrev_b64 v[16:17], 2, v[10:11]
	v_add_co_u32_e32 v16, vcc, v0, v16
	v_addc_co_u32_e32 v17, vcc, v1, v17, vcc
	flat_load_dword v11, v[16:17]
	s_waitcnt vmcnt(0) lgkmcnt(0)
	v_not_b32_e32 v15, v11
	v_and_b32_e32 v16, 0x7fe00000, v15
	v_cmp_gt_i32_e32 vcc, 0, v11
	v_cndmask_b32_e32 v16, v16, v11, vcc
	v_xor_b32_e32 v16, v16, v30
	v_cmp_gt_u32_e32 vcc, s44, v16
	s_and_saveexec_b64 s[36:37], vcc
	s_cbranch_execz .LBB5_444
; %bb.446:                              ;   in Loop: Header=BB5_445 Depth=1
	v_lshrrev_b32_e32 v16, 10, v11
	v_ashrrev_i32_e32 v15, 31, v15
	v_xor_b32_e32 v15, v16, v15
	v_and_b32_e32 v15, 0x7ff, v15
	v_cmp_lt_u32_e32 vcc, v15, v29
	s_and_saveexec_b64 s[38:39], vcc
	s_cbranch_execz .LBB5_450
; %bb.447:                              ;   in Loop: Header=BB5_445 Depth=1
	s_mov_b64 s[42:43], exec
	v_mbcnt_lo_u32_b32 v16, s42, 0
	v_mbcnt_hi_u32_b32 v16, s43, v16
	v_cmp_eq_u32_e32 vcc, 0, v16
                                        ; implicit-def: $vgpr17
	s_and_saveexec_b64 s[40:41], vcc
	s_cbranch_execz .LBB5_449
; %bb.448:                              ;   in Loop: Header=BB5_445 Depth=1
	s_bcnt1_i32_b64 vcc_lo, s[42:43]
	v_mov_b32_e32 v17, vcc_lo
	ds_add_rtn_u32 v17, v13, v17 offset:33048
.LBB5_449:                              ;   in Loop: Header=BB5_445 Depth=1
	s_or_b64 exec, exec, s[40:41]
	s_load_dword vcc_lo, s[30:31], 0x0
	s_waitcnt lgkmcnt(0)
	v_readfirstlane_b32 vcc_hi, v17
	v_add_u32_e32 v16, vcc_hi, v16
	v_lshl_add_u32 v16, v16, 2, vcc_lo
	ds_write_b32 v16, v12
.LBB5_450:                              ;   in Loop: Header=BB5_445 Depth=1
	s_or_b64 exec, exec, s[38:39]
	v_cmp_eq_u32_e32 vcc, v15, v29
	s_and_b64 vcc, vcc, s[28:29]
	s_and_b64 exec, exec, vcc
	s_cbranch_execz .LBB5_444
; %bb.451:                              ;   in Loop: Header=BB5_445 Depth=1
	s_mov_b64 s[40:41], exec
	v_mbcnt_lo_u32_b32 v15, s40, 0
	v_mbcnt_hi_u32_b32 v15, s41, v15
	v_cmp_eq_u32_e32 vcc, 0, v15
                                        ; implicit-def: $vgpr16
	s_and_saveexec_b64 s[38:39], vcc
	s_cbranch_execz .LBB5_443
; %bb.452:                              ;   in Loop: Header=BB5_445 Depth=1
	s_bcnt1_i32_b64 vcc_lo, s[40:41]
	v_mov_b32_e32 v16, vcc_lo
	ds_add_rtn_u32 v16, v13, v16 offset:33040
	s_branch .LBB5_443
.LBB5_453:
	s_or_b64 exec, exec, s[26:27]
.LBB5_454:
	s_andn2_saveexec_b64 s[26:27], s[8:9]
	s_cbranch_execz .LBB5_515
; %bb.455:
	v_lshlrev_b64 v[10:11], 2, v[2:3]
	v_add_co_u32_e32 v31, vcc, v0, v10
	v_and_b32_e32 v16, 15, v31
	v_mov_b32_e32 v17, 0
	v_addc_co_u32_e32 v32, vcc, v1, v11, vcc
	v_sub_u32_e32 v12, 16, v16
	v_lshrrev_b32_e32 v12, 2, v12
	v_cmp_ne_u64_e32 vcc, 0, v[16:17]
	v_cndmask_b32_e32 v12, 0, v12, vcc
	v_min_i32_e32 v14, v12, v22
	v_sub_u32_e32 v12, v22, v14
	v_ashrrev_i32_e32 v13, 31, v12
	v_lshrrev_b32_e32 v13, 30, v13
	v_add_u32_e32 v12, v12, v13
	v_ashrrev_i32_e32 v16, 2, v12
	s_mov_b64 s[28:29], 0
	v_ashrrev_i32_e32 v15, 31, v14
	v_cmp_gt_i32_e32 vcc, v16, v18
	s_and_saveexec_b64 s[30:31], vcc
	s_cbranch_execz .LBB5_494
; %bb.456:
	ds_read_b32 v12, v17 offset:33044
	v_lshlrev_b32_e32 v20, 4, v18
	v_lshl_add_u32 v33, v18, 2, v14
	s_mov_b32 s44, 0x200000
	s_waitcnt lgkmcnt(0)
	v_readfirstlane_b32 s8, v12
	s_cmpk_lt_i32 s8, 0x801
	s_cselect_b64 s[34:35], -1, 0
	s_ashr_i32 s53, s52, 31
	s_getpc_b64 s[8:9]
	s_add_u32 s8, s8, llvm.amdgcn.dynlds.offset.table@rel32@lo+4
	s_addc_u32 s9, s9, llvm.amdgcn.dynlds.offset.table@rel32@hi+12
	s_lshl_b64 vcc, s[52:53], 2
	s_add_u32 s36, vcc_lo, s8
	v_lshlrev_b64 v[12:13], 2, v[14:15]
	s_addc_u32 s37, vcc_hi, s9
	v_add_co_u32_e32 v12, vcc, v20, v12
	v_addc_co_u32_e32 v13, vcc, 0, v13, vcc
	v_add_co_u32_e32 v10, vcc, v12, v10
	v_addc_co_u32_e32 v11, vcc, v13, v11, vcc
	;; [unrolled: 2-line block ×3, first 2 shown]
	v_mov_b32_e32 v15, v18
	s_branch .LBB5_459
.LBB5_457:                              ;   in Loop: Header=BB5_459 Depth=1
	s_or_b64 exec, exec, s[38:39]
	s_waitcnt lgkmcnt(0)
	v_readfirstlane_b32 vcc_lo, v12
	v_add_lshl_u32 v11, vcc_lo, v11, 2
	ds_write2st64_b32 v11, v10, v13 offset0:64 offset1:96
.LBB5_458:                              ;   in Loop: Header=BB5_459 Depth=1
	s_or_b64 exec, exec, s[8:9]
	v_add_u32_e32 v15, 0x200, v15
	v_add_co_u32_e32 v20, vcc, 0x2000, v20
	v_cmp_ge_i32_e64 s[8:9], v15, v16
	v_add_u32_e32 v33, 0x800, v33
	s_or_b64 s[28:29], s[8:9], s[28:29]
	v_addc_co_u32_e32 v21, vcc, 0, v21, vcc
	s_andn2_b64 exec, exec, s[28:29]
	s_cbranch_execz .LBB5_494
.LBB5_459:                              ; =>This Inner Loop Header: Depth=1
	flat_load_dwordx4 v[10:13], v[20:21]
	s_waitcnt vmcnt(0) lgkmcnt(0)
	v_not_b32_e32 v34, v10
	v_and_b32_e32 v35, 0x7fe00000, v34
	v_cmp_gt_i32_e32 vcc, 0, v10
	v_cndmask_b32_e32 v35, v35, v10, vcc
	v_xor_b32_e32 v35, v35, v30
	v_cmp_gt_u32_e32 vcc, s44, v35
	s_and_saveexec_b64 s[8:9], vcc
	s_cbranch_execz .LBB5_468
; %bb.460:                              ;   in Loop: Header=BB5_459 Depth=1
	v_lshrrev_b32_e32 v35, 10, v10
	v_ashrrev_i32_e32 v34, 31, v34
	v_xor_b32_e32 v34, v35, v34
	v_and_b32_e32 v34, 0x7ff, v34
	v_cmp_lt_u32_e32 vcc, v34, v29
	s_and_saveexec_b64 s[38:39], vcc
	s_cbranch_execz .LBB5_464
; %bb.461:                              ;   in Loop: Header=BB5_459 Depth=1
	s_mov_b64 s[42:43], exec
	v_mbcnt_lo_u32_b32 v35, s42, 0
	v_mbcnt_hi_u32_b32 v35, s43, v35
	v_cmp_eq_u32_e32 vcc, 0, v35
                                        ; implicit-def: $vgpr36
	s_and_saveexec_b64 s[40:41], vcc
	s_cbranch_execz .LBB5_463
; %bb.462:                              ;   in Loop: Header=BB5_459 Depth=1
	s_bcnt1_i32_b64 vcc_lo, s[42:43]
	v_mov_b32_e32 v36, vcc_lo
	ds_add_rtn_u32 v36, v17, v36 offset:33048
.LBB5_463:                              ;   in Loop: Header=BB5_459 Depth=1
	s_or_b64 exec, exec, s[40:41]
	s_load_dword vcc_lo, s[36:37], 0x0
	s_waitcnt lgkmcnt(0)
	v_readfirstlane_b32 vcc_hi, v36
	v_add_u32_e32 v35, vcc_hi, v35
	v_lshl_add_u32 v35, v35, 2, vcc_lo
	ds_write_b32 v35, v33
.LBB5_464:                              ;   in Loop: Header=BB5_459 Depth=1
	s_or_b64 exec, exec, s[38:39]
	v_cmp_eq_u32_e32 vcc, v34, v29
	s_and_b64 vcc, vcc, s[34:35]
	s_and_b64 exec, exec, vcc
	s_cbranch_execz .LBB5_468
; %bb.465:                              ;   in Loop: Header=BB5_459 Depth=1
	s_mov_b64 s[40:41], exec
	v_mbcnt_lo_u32_b32 v34, s40, 0
	v_mbcnt_hi_u32_b32 v34, s41, v34
	v_cmp_eq_u32_e32 vcc, 0, v34
                                        ; implicit-def: $vgpr35
	s_and_saveexec_b64 s[38:39], vcc
	s_cbranch_execz .LBB5_467
; %bb.466:                              ;   in Loop: Header=BB5_459 Depth=1
	s_bcnt1_i32_b64 vcc_lo, s[40:41]
	v_mov_b32_e32 v35, vcc_lo
	ds_add_rtn_u32 v35, v17, v35 offset:33040
.LBB5_467:                              ;   in Loop: Header=BB5_459 Depth=1
	s_or_b64 exec, exec, s[38:39]
	s_waitcnt lgkmcnt(0)
	v_readfirstlane_b32 vcc_lo, v35
	v_add_lshl_u32 v34, vcc_lo, v34, 2
	ds_write2st64_b32 v34, v33, v10 offset0:64 offset1:96
.LBB5_468:                              ;   in Loop: Header=BB5_459 Depth=1
	s_or_b64 exec, exec, s[8:9]
	v_not_b32_e32 v34, v11
	v_and_b32_e32 v10, 0x7fe00000, v34
	v_cmp_gt_i32_e32 vcc, 0, v11
	v_cndmask_b32_e32 v10, v10, v11, vcc
	v_xor_b32_e32 v10, v10, v30
	v_cmp_gt_u32_e32 vcc, s44, v10
	s_and_saveexec_b64 s[8:9], vcc
	s_cbranch_execz .LBB5_477
; %bb.469:                              ;   in Loop: Header=BB5_459 Depth=1
	v_lshrrev_b32_e32 v35, 10, v11
	v_ashrrev_i32_e32 v34, 31, v34
	v_xor_b32_e32 v34, v35, v34
	v_and_b32_e32 v34, 0x7ff, v34
	v_add_u32_e32 v10, 1, v33
	v_cmp_lt_u32_e32 vcc, v34, v29
	s_and_saveexec_b64 s[38:39], vcc
	s_cbranch_execz .LBB5_473
; %bb.470:                              ;   in Loop: Header=BB5_459 Depth=1
	s_mov_b64 s[42:43], exec
	v_mbcnt_lo_u32_b32 v35, s42, 0
	v_mbcnt_hi_u32_b32 v35, s43, v35
	v_cmp_eq_u32_e32 vcc, 0, v35
                                        ; implicit-def: $vgpr36
	s_and_saveexec_b64 s[40:41], vcc
	s_cbranch_execz .LBB5_472
; %bb.471:                              ;   in Loop: Header=BB5_459 Depth=1
	s_bcnt1_i32_b64 vcc_lo, s[42:43]
	v_mov_b32_e32 v36, vcc_lo
	ds_add_rtn_u32 v36, v17, v36 offset:33048
.LBB5_472:                              ;   in Loop: Header=BB5_459 Depth=1
	s_or_b64 exec, exec, s[40:41]
	s_load_dword vcc_lo, s[36:37], 0x0
	s_waitcnt lgkmcnt(0)
	v_readfirstlane_b32 vcc_hi, v36
	v_add_u32_e32 v35, vcc_hi, v35
	v_lshl_add_u32 v35, v35, 2, vcc_lo
	ds_write_b32 v35, v10
.LBB5_473:                              ;   in Loop: Header=BB5_459 Depth=1
	s_or_b64 exec, exec, s[38:39]
	v_cmp_eq_u32_e32 vcc, v34, v29
	s_and_b64 vcc, vcc, s[34:35]
	s_and_b64 exec, exec, vcc
	s_cbranch_execz .LBB5_477
; %bb.474:                              ;   in Loop: Header=BB5_459 Depth=1
	s_mov_b64 s[40:41], exec
	v_mbcnt_lo_u32_b32 v34, s40, 0
	v_mbcnt_hi_u32_b32 v34, s41, v34
	v_cmp_eq_u32_e32 vcc, 0, v34
                                        ; implicit-def: $vgpr35
	s_and_saveexec_b64 s[38:39], vcc
	s_cbranch_execz .LBB5_476
; %bb.475:                              ;   in Loop: Header=BB5_459 Depth=1
	s_bcnt1_i32_b64 vcc_lo, s[40:41]
	v_mov_b32_e32 v35, vcc_lo
	ds_add_rtn_u32 v35, v17, v35 offset:33040
.LBB5_476:                              ;   in Loop: Header=BB5_459 Depth=1
	s_or_b64 exec, exec, s[38:39]
	s_waitcnt lgkmcnt(0)
	v_readfirstlane_b32 vcc_lo, v35
	v_add_lshl_u32 v34, vcc_lo, v34, 2
	ds_write2st64_b32 v34, v10, v11 offset0:64 offset1:96
.LBB5_477:                              ;   in Loop: Header=BB5_459 Depth=1
	s_or_b64 exec, exec, s[8:9]
	v_not_b32_e32 v11, v12
	v_and_b32_e32 v10, 0x7fe00000, v11
	v_cmp_gt_i32_e32 vcc, 0, v12
	v_cndmask_b32_e32 v10, v10, v12, vcc
	v_xor_b32_e32 v10, v10, v30
	v_cmp_gt_u32_e32 vcc, s44, v10
	s_and_saveexec_b64 s[8:9], vcc
	s_cbranch_execz .LBB5_486
; %bb.478:                              ;   in Loop: Header=BB5_459 Depth=1
	v_lshrrev_b32_e32 v34, 10, v12
	v_ashrrev_i32_e32 v11, 31, v11
	v_xor_b32_e32 v11, v34, v11
	v_and_b32_e32 v11, 0x7ff, v11
	v_add_u32_e32 v10, 2, v33
	v_cmp_lt_u32_e32 vcc, v11, v29
	s_and_saveexec_b64 s[38:39], vcc
	s_cbranch_execz .LBB5_482
; %bb.479:                              ;   in Loop: Header=BB5_459 Depth=1
	s_mov_b64 s[42:43], exec
	v_mbcnt_lo_u32_b32 v34, s42, 0
	v_mbcnt_hi_u32_b32 v34, s43, v34
	v_cmp_eq_u32_e32 vcc, 0, v34
                                        ; implicit-def: $vgpr35
	s_and_saveexec_b64 s[40:41], vcc
	s_cbranch_execz .LBB5_481
; %bb.480:                              ;   in Loop: Header=BB5_459 Depth=1
	s_bcnt1_i32_b64 vcc_lo, s[42:43]
	v_mov_b32_e32 v35, vcc_lo
	ds_add_rtn_u32 v35, v17, v35 offset:33048
.LBB5_481:                              ;   in Loop: Header=BB5_459 Depth=1
	s_or_b64 exec, exec, s[40:41]
	s_load_dword vcc_lo, s[36:37], 0x0
	s_waitcnt lgkmcnt(0)
	v_readfirstlane_b32 vcc_hi, v35
	v_add_u32_e32 v34, vcc_hi, v34
	v_lshl_add_u32 v34, v34, 2, vcc_lo
	ds_write_b32 v34, v10
.LBB5_482:                              ;   in Loop: Header=BB5_459 Depth=1
	s_or_b64 exec, exec, s[38:39]
	v_cmp_eq_u32_e32 vcc, v11, v29
	s_and_b64 vcc, vcc, s[34:35]
	s_and_b64 exec, exec, vcc
	s_cbranch_execz .LBB5_486
; %bb.483:                              ;   in Loop: Header=BB5_459 Depth=1
	s_mov_b64 s[40:41], exec
	v_mbcnt_lo_u32_b32 v11, s40, 0
	v_mbcnt_hi_u32_b32 v11, s41, v11
	v_cmp_eq_u32_e32 vcc, 0, v11
                                        ; implicit-def: $vgpr34
	s_and_saveexec_b64 s[38:39], vcc
	s_cbranch_execz .LBB5_485
; %bb.484:                              ;   in Loop: Header=BB5_459 Depth=1
	s_bcnt1_i32_b64 vcc_lo, s[40:41]
	v_mov_b32_e32 v34, vcc_lo
	ds_add_rtn_u32 v34, v17, v34 offset:33040
.LBB5_485:                              ;   in Loop: Header=BB5_459 Depth=1
	s_or_b64 exec, exec, s[38:39]
	s_waitcnt lgkmcnt(0)
	v_readfirstlane_b32 vcc_lo, v34
	v_add_lshl_u32 v11, vcc_lo, v11, 2
	ds_write2st64_b32 v11, v10, v12 offset0:64 offset1:96
.LBB5_486:                              ;   in Loop: Header=BB5_459 Depth=1
	s_or_b64 exec, exec, s[8:9]
	v_not_b32_e32 v11, v13
	v_and_b32_e32 v10, 0x7fe00000, v11
	v_cmp_gt_i32_e32 vcc, 0, v13
	v_cndmask_b32_e32 v10, v10, v13, vcc
	v_xor_b32_e32 v10, v10, v30
	v_cmp_gt_u32_e32 vcc, s44, v10
	s_and_saveexec_b64 s[8:9], vcc
	s_cbranch_execz .LBB5_458
; %bb.487:                              ;   in Loop: Header=BB5_459 Depth=1
	v_lshrrev_b32_e32 v12, 10, v13
	v_ashrrev_i32_e32 v11, 31, v11
	v_xor_b32_e32 v11, v12, v11
	v_and_b32_e32 v11, 0x7ff, v11
	v_add_u32_e32 v10, 3, v33
	v_cmp_lt_u32_e32 vcc, v11, v29
	s_and_saveexec_b64 s[38:39], vcc
	s_cbranch_execz .LBB5_491
; %bb.488:                              ;   in Loop: Header=BB5_459 Depth=1
	s_mov_b64 s[42:43], exec
	v_mbcnt_lo_u32_b32 v12, s42, 0
	v_mbcnt_hi_u32_b32 v12, s43, v12
	v_cmp_eq_u32_e32 vcc, 0, v12
                                        ; implicit-def: $vgpr34
	s_and_saveexec_b64 s[40:41], vcc
	s_cbranch_execz .LBB5_490
; %bb.489:                              ;   in Loop: Header=BB5_459 Depth=1
	s_bcnt1_i32_b64 vcc_lo, s[42:43]
	v_mov_b32_e32 v34, vcc_lo
	ds_add_rtn_u32 v34, v17, v34 offset:33048
.LBB5_490:                              ;   in Loop: Header=BB5_459 Depth=1
	s_or_b64 exec, exec, s[40:41]
	s_load_dword vcc_lo, s[36:37], 0x0
	s_waitcnt lgkmcnt(0)
	v_readfirstlane_b32 vcc_hi, v34
	v_add_u32_e32 v12, vcc_hi, v12
	v_lshl_add_u32 v12, v12, 2, vcc_lo
	ds_write_b32 v12, v10
.LBB5_491:                              ;   in Loop: Header=BB5_459 Depth=1
	s_or_b64 exec, exec, s[38:39]
	v_cmp_eq_u32_e32 vcc, v11, v29
	s_and_b64 vcc, vcc, s[34:35]
	s_and_b64 exec, exec, vcc
	s_cbranch_execz .LBB5_458
; %bb.492:                              ;   in Loop: Header=BB5_459 Depth=1
	s_mov_b64 s[40:41], exec
	v_mbcnt_lo_u32_b32 v11, s40, 0
	v_mbcnt_hi_u32_b32 v11, s41, v11
	v_cmp_eq_u32_e32 vcc, 0, v11
                                        ; implicit-def: $vgpr12
	s_and_saveexec_b64 s[38:39], vcc
	s_cbranch_execz .LBB5_457
; %bb.493:                              ;   in Loop: Header=BB5_459 Depth=1
	s_bcnt1_i32_b64 vcc_lo, s[40:41]
	v_mov_b32_e32 v12, vcc_lo
	ds_add_rtn_u32 v12, v17, v12 offset:33040
	s_branch .LBB5_457
.LBB5_494:
	s_or_b64 exec, exec, s[30:31]
	v_cmp_gt_u32_e32 vcc, v14, v18
	s_and_saveexec_b64 s[8:9], vcc
	s_cbranch_execz .LBB5_504
; %bb.495:
	v_add_co_u32_e32 v10, vcc, v31, v19
	v_addc_co_u32_e32 v11, vcc, 0, v32, vcc
	flat_load_dword v10, v[10:11]
	s_mov_b32 s28, 0x200000
	s_waitcnt vmcnt(0) lgkmcnt(0)
	v_not_b32_e32 v11, v10
	v_and_b32_e32 v12, 0x7fe00000, v11
	v_cmp_gt_i32_e32 vcc, 0, v10
	v_cndmask_b32_e32 v12, v12, v10, vcc
	v_xor_b32_e32 v12, v12, v30
	v_cmp_gt_u32_e32 vcc, s28, v12
	s_and_b64 exec, exec, vcc
	s_cbranch_execz .LBB5_504
; %bb.496:
	v_lshrrev_b32_e32 v12, 10, v10
	v_ashrrev_i32_e32 v11, 31, v11
	v_xor_b32_e32 v11, v12, v11
	v_and_b32_e32 v11, 0x7ff, v11
	v_cmp_lt_u32_e32 vcc, v11, v29
	s_and_saveexec_b64 s[28:29], vcc
	s_cbranch_execz .LBB5_500
; %bb.497:
	s_mov_b64 s[34:35], exec
	v_mbcnt_lo_u32_b32 v12, s34, 0
	v_mbcnt_hi_u32_b32 v12, s35, v12
	v_cmp_eq_u32_e32 vcc, 0, v12
                                        ; implicit-def: $vgpr13
	s_and_saveexec_b64 s[30:31], vcc
	s_cbranch_execz .LBB5_499
; %bb.498:
	s_bcnt1_i32_b64 vcc_lo, s[34:35]
	v_mov_b32_e32 v13, 0
	v_mov_b32_e32 v15, vcc_lo
	ds_add_rtn_u32 v13, v13, v15 offset:33048
.LBB5_499:
	s_or_b64 exec, exec, s[30:31]
	s_ashr_i32 s53, s52, 31
	s_lshl_b64 vcc, s[52:53], 2
	s_getpc_b64 s[30:31]
	s_add_u32 s30, s30, llvm.amdgcn.dynlds.offset.table@rel32@lo+4
	s_addc_u32 s31, s31, llvm.amdgcn.dynlds.offset.table@rel32@hi+12
	s_add_u32 vcc_lo, vcc_lo, s30
	s_addc_u32 vcc_hi, vcc_hi, s31
	s_load_dword vcc_lo, vcc, 0x0
	s_waitcnt lgkmcnt(0)
	v_readfirstlane_b32 vcc_hi, v13
	v_add_u32_e32 v12, vcc_hi, v12
	v_lshl_add_u32 v12, v12, 2, vcc_lo
	ds_write_b32 v12, v18
.LBB5_500:
	s_or_b64 exec, exec, s[28:29]
	v_mov_b32_e32 v12, 0
	ds_read_b32 v12, v12 offset:33044
	v_cmp_eq_u32_e32 vcc, v11, v29
	s_waitcnt lgkmcnt(0)
	v_readfirstlane_b32 s28, v12
	s_cmpk_lt_i32 s28, 0x801
	s_cselect_b64 s[28:29], -1, 0
	s_and_b64 s[28:29], vcc, s[28:29]
	s_and_b64 exec, exec, s[28:29]
	s_cbranch_execz .LBB5_504
; %bb.501:
	s_mov_b64 s[30:31], exec
	v_mbcnt_lo_u32_b32 v11, s30, 0
	v_mbcnt_hi_u32_b32 v11, s31, v11
	v_cmp_eq_u32_e32 vcc, 0, v11
                                        ; implicit-def: $vgpr12
	s_and_saveexec_b64 s[28:29], vcc
	s_cbranch_execz .LBB5_503
; %bb.502:
	s_bcnt1_i32_b64 vcc_lo, s[30:31]
	v_mov_b32_e32 v12, 0
	v_mov_b32_e32 v13, vcc_lo
	ds_add_rtn_u32 v12, v12, v13 offset:33040
.LBB5_503:
	s_or_b64 exec, exec, s[28:29]
	s_waitcnt lgkmcnt(0)
	v_readfirstlane_b32 s28, v12
	v_add_lshl_u32 v11, s28, v11, 2
	ds_write2st64_b32 v11, v18, v10 offset0:64 offset1:96
.LBB5_504:
	s_or_b64 exec, exec, s[8:9]
	v_lshlrev_b32_e32 v10, 2, v16
	v_add3_u32 v10, v14, v18, v10
	v_cmp_lt_i32_e32 vcc, v10, v22
	s_and_saveexec_b64 s[8:9], vcc
	s_cbranch_execz .LBB5_514
; %bb.505:
	v_ashrrev_i32_e32 v11, 31, v10
	v_lshlrev_b64 v[12:13], 2, v[10:11]
	v_add_co_u32_e32 v12, vcc, v31, v12
	v_addc_co_u32_e32 v13, vcc, v32, v13, vcc
	flat_load_dword v11, v[12:13]
	s_mov_b32 s28, 0x200000
	s_waitcnt vmcnt(0) lgkmcnt(0)
	v_not_b32_e32 v12, v11
	v_and_b32_e32 v13, 0x7fe00000, v12
	v_cmp_gt_i32_e32 vcc, 0, v11
	v_cndmask_b32_e32 v13, v13, v11, vcc
	v_xor_b32_e32 v13, v13, v30
	v_cmp_gt_u32_e32 vcc, s28, v13
	s_and_b64 exec, exec, vcc
	s_cbranch_execz .LBB5_514
; %bb.506:
	v_lshrrev_b32_e32 v13, 10, v11
	v_ashrrev_i32_e32 v12, 31, v12
	v_xor_b32_e32 v12, v13, v12
	v_and_b32_e32 v12, 0x7ff, v12
	v_cmp_lt_u32_e32 vcc, v12, v29
	s_and_saveexec_b64 s[28:29], vcc
	s_cbranch_execz .LBB5_510
; %bb.507:
	s_mov_b64 s[34:35], exec
	v_mbcnt_lo_u32_b32 v13, s34, 0
	v_mbcnt_hi_u32_b32 v13, s35, v13
	v_cmp_eq_u32_e32 vcc, 0, v13
                                        ; implicit-def: $vgpr14
	s_and_saveexec_b64 s[30:31], vcc
	s_cbranch_execz .LBB5_509
; %bb.508:
	s_bcnt1_i32_b64 vcc_lo, s[34:35]
	v_mov_b32_e32 v14, 0
	v_mov_b32_e32 v15, vcc_lo
	ds_add_rtn_u32 v14, v14, v15 offset:33048
.LBB5_509:
	s_or_b64 exec, exec, s[30:31]
	s_ashr_i32 s53, s52, 31
	s_lshl_b64 vcc, s[52:53], 2
	s_getpc_b64 s[30:31]
	s_add_u32 s30, s30, llvm.amdgcn.dynlds.offset.table@rel32@lo+4
	s_addc_u32 s31, s31, llvm.amdgcn.dynlds.offset.table@rel32@hi+12
	s_add_u32 vcc_lo, vcc_lo, s30
	s_addc_u32 vcc_hi, vcc_hi, s31
	s_load_dword vcc_lo, vcc, 0x0
	s_waitcnt lgkmcnt(0)
	v_readfirstlane_b32 vcc_hi, v14
	v_add_u32_e32 v13, vcc_hi, v13
	v_lshl_add_u32 v13, v13, 2, vcc_lo
	ds_write_b32 v13, v10
.LBB5_510:
	s_or_b64 exec, exec, s[28:29]
	v_mov_b32_e32 v13, 0
	ds_read_b32 v13, v13 offset:33044
	v_cmp_eq_u32_e32 vcc, v12, v29
	s_waitcnt lgkmcnt(0)
	v_readfirstlane_b32 s28, v13
	s_cmpk_lt_i32 s28, 0x801
	s_cselect_b64 s[28:29], -1, 0
	s_and_b64 s[28:29], vcc, s[28:29]
	s_and_b64 exec, exec, s[28:29]
	s_cbranch_execz .LBB5_514
; %bb.511:
	s_mov_b64 s[30:31], exec
	v_mbcnt_lo_u32_b32 v12, s30, 0
	v_mbcnt_hi_u32_b32 v12, s31, v12
	v_cmp_eq_u32_e32 vcc, 0, v12
                                        ; implicit-def: $vgpr13
	s_and_saveexec_b64 s[28:29], vcc
	s_cbranch_execz .LBB5_513
; %bb.512:
	s_bcnt1_i32_b64 vcc_lo, s[30:31]
	v_mov_b32_e32 v13, 0
	v_mov_b32_e32 v14, vcc_lo
	ds_add_rtn_u32 v13, v13, v14 offset:33040
.LBB5_513:
	s_or_b64 exec, exec, s[28:29]
	s_waitcnt lgkmcnt(0)
	v_readfirstlane_b32 s28, v13
	v_add_lshl_u32 v12, s28, v12, 2
	ds_write2st64_b32 v12, v10, v11 offset0:64 offset1:96
.LBB5_514:
	s_or_b64 exec, exec, s[8:9]
.LBB5_515:
	s_or_b64 exec, exec, s[26:27]
	v_mov_b32_e32 v10, 0
	s_waitcnt lgkmcnt(0)
	s_barrier
	ds_read_b32 v10, v10 offset:33044
	s_movk_i32 s8, 0x800
	s_waitcnt lgkmcnt(0)
	v_cmp_lt_i32_e64 s[8:9], s8, v10
	s_andn2_b64 vcc, exec, s[8:9]
	s_mov_b64 s[8:9], -1
	s_cbranch_vccz .LBB5_551
.LBB5_516:
	v_mov_b32_e32 v10, 0
	ds_read_b32 v20, v10 offset:33040
	s_mov_b32 s28, 0xff7fffff
	s_mov_b32 s29, s28
	;; [unrolled: 1-line block ×4, first 2 shown]
	v_pk_mov_b32 v[14:15], s[28:29], s[28:29] op_sel:[0,1]
	s_waitcnt lgkmcnt(0)
	v_cmp_lt_i32_e32 vcc, v18, v20
	v_pk_mov_b32 v[16:17], s[30:31], s[30:31] op_sel:[0,1]
                                        ; implicit-def: $vgpr10_vgpr11_vgpr12_vgpr13
	s_and_saveexec_b64 s[8:9], vcc
	s_cbranch_execz .LBB5_518
; %bb.517:
	ds_read2st64_b32 v[10:11], v28 offset1:32
	v_mov_b32_e32 v15, 0xff7fffff
	v_mov_b32_e32 v16, v15
	;; [unrolled: 1-line block ×3, first 2 shown]
	s_waitcnt lgkmcnt(0)
	v_mov_b32_e32 v14, v11
.LBB5_518:
	s_or_b64 exec, exec, s[8:9]
	v_add_u32_e32 v21, 0x200, v18
	v_cmp_lt_i32_e32 vcc, v21, v20
	s_and_saveexec_b64 s[8:9], vcc
	s_cbranch_execz .LBB5_520
; %bb.519:
	ds_read_b32 v15, v19 offset:26624
	ds_read_b32 v11, v28 offset:2048
.LBB5_520:
	s_or_b64 exec, exec, s[8:9]
	v_or_b32_e32 v21, 0x400, v18
	v_cmp_lt_i32_e32 vcc, v21, v20
	s_and_saveexec_b64 s[8:9], vcc
	s_cbranch_execz .LBB5_522
; %bb.521:
	ds_read_b32 v16, v19 offset:28672
	ds_read_b32 v12, v28 offset:4096
.LBB5_522:
	s_or_b64 exec, exec, s[8:9]
	v_add_u32_e32 v21, 0x600, v18
	v_cmp_lt_i32_e32 vcc, v21, v20
	s_and_saveexec_b64 s[8:9], vcc
	s_cbranch_execz .LBB5_524
; %bb.523:
	ds_read_b32 v17, v19 offset:30720
	ds_read_b32 v13, v28 offset:6144
.LBB5_524:
	s_or_b64 exec, exec, s[8:9]
	v_bfrev_b32_e32 v20, -2
	v_cmp_gt_i32_e32 vcc, 0, v14
	v_cndmask_b32_e64 v21, v20, 0, vcc
	s_waitcnt lgkmcnt(1)
	v_cmp_gt_i32_e32 vcc, 0, v15
	v_xor_b32_e32 v21, v21, v14
	v_cndmask_b32_e64 v14, v20, 0, vcc
	v_cmp_gt_i32_e32 vcc, 0, v16
	v_xor_b32_e32 v31, v14, v15
	v_cndmask_b32_e64 v14, v20, 0, vcc
	v_xor_b32_e32 v16, v14, v16
	v_mbcnt_lo_u32_b32 v14, -1, 0
	v_mbcnt_hi_u32_b32 v33, -1, v14
	v_lshrrev_b32_e32 v32, 2, v33
	v_and_b32_e32 v34, 64, v33
	v_or_b32_e32 v14, v32, v34
	v_lshlrev_b32_e32 v35, 2, v14
	ds_bpermute_b32 v14, v35, v21
	ds_bpermute_b32 v15, v35, v31
	v_cmp_gt_i32_e32 vcc, 0, v17
	v_cndmask_b32_e64 v36, v20, 0, vcc
	v_xor_b32_e32 v17, v36, v17
	v_and_b32_e32 v36, 3, v33
	v_cmp_eq_u32_e32 vcc, 1, v36
	s_waitcnt lgkmcnt(0)
	v_cndmask_b32_e32 v14, v14, v15, vcc
	ds_bpermute_b32 v15, v35, v16
	ds_bpermute_b32 v38, v35, v21 offset:64
	ds_bpermute_b32 v39, v35, v31 offset:64
	ds_bpermute_b32 v37, v35, v17
	v_cmp_eq_u32_e64 s[8:9], 2, v36
	v_add_u32_e32 v32, 48, v32
	s_waitcnt lgkmcnt(3)
	v_cndmask_b32_e64 v14, v14, v15, s[8:9]
	v_cmp_eq_u32_e64 s[26:27], 3, v36
	s_waitcnt lgkmcnt(1)
	v_cndmask_b32_e32 v15, v38, v39, vcc
	ds_bpermute_b32 v36, v35, v16 offset:64
	ds_bpermute_b32 v38, v35, v21 offset:128
	;; [unrolled: 1-line block ×3, first 2 shown]
	v_and_or_b32 v32, v32, 63, v34
	ds_bpermute_b32 v48, v35, v16 offset:128
	v_lshlrev_b32_e32 v32, 2, v32
	s_waitcnt lgkmcnt(4)
	v_cndmask_b32_e64 v14, v14, v37, s[26:27]
	ds_bpermute_b32 v37, v35, v17 offset:64
	ds_bpermute_b32 v49, v35, v17 offset:128
	ds_bpermute_b32 v21, v32, v21
	ds_bpermute_b32 v31, v32, v31
	;; [unrolled: 1-line block ×4, first 2 shown]
	s_waitcnt lgkmcnt(9)
	v_cndmask_b32_e64 v15, v15, v36, s[8:9]
	s_waitcnt lgkmcnt(7)
	v_cndmask_b32_e32 v36, v38, v39, vcc
	s_waitcnt lgkmcnt(6)
	v_cndmask_b32_e64 v36, v36, v48, s[8:9]
	s_waitcnt lgkmcnt(5)
	v_cndmask_b32_e64 v15, v15, v37, s[26:27]
	;; [unrolled: 2-line block ×3, first 2 shown]
	ds_bpermute_b32 v36, v35, v10
	ds_bpermute_b32 v37, v35, v11
	s_waitcnt lgkmcnt(4)
	v_cndmask_b32_e32 v21, v21, v31, vcc
	ds_bpermute_b32 v38, v35, v12
	s_waitcnt lgkmcnt(4)
	v_cndmask_b32_e64 v16, v21, v16, s[8:9]
	s_waitcnt lgkmcnt(3)
	v_cndmask_b32_e64 v55, v16, v17, s[26:27]
	ds_bpermute_b32 v17, v35, v13
	ds_bpermute_b32 v21, v35, v10 offset:64
	ds_bpermute_b32 v31, v35, v11 offset:64
	s_waitcnt lgkmcnt(4)
	v_cndmask_b32_e32 v16, v36, v37, vcc
	s_waitcnt lgkmcnt(3)
	v_cndmask_b32_e64 v16, v16, v38, s[8:9]
	ds_bpermute_b32 v38, v35, v10 offset:128
	s_waitcnt lgkmcnt(3)
	v_cndmask_b32_e64 v64, v16, v17, s[26:27]
	s_waitcnt lgkmcnt(1)
	v_cndmask_b32_e32 v16, v21, v31, vcc
	ds_bpermute_b32 v10, v32, v10
	ds_bpermute_b32 v31, v32, v11
	ds_bpermute_b32 v36, v35, v12 offset:64
	ds_bpermute_b32 v17, v35, v12 offset:128
	ds_bpermute_b32 v12, v32, v12
	ds_bpermute_b32 v37, v35, v13 offset:64
	ds_bpermute_b32 v39, v35, v11 offset:128
	;; [unrolled: 1-line block ×3, first 2 shown]
	ds_bpermute_b32 v13, v32, v13
	s_waitcnt lgkmcnt(7)
	v_cndmask_b32_e32 v10, v10, v31, vcc
	s_waitcnt lgkmcnt(6)
	v_cndmask_b32_e64 v16, v16, v36, s[8:9]
	s_waitcnt lgkmcnt(4)
	v_cndmask_b32_e64 v10, v10, v12, s[8:9]
	;; [unrolled: 2-line block ×3, first 2 shown]
	s_waitcnt lgkmcnt(2)
	v_cndmask_b32_e32 v16, v38, v39, vcc
	s_waitcnt lgkmcnt(0)
	v_cndmask_b32_e64 v12, v10, v13, s[26:27]
	v_lshlrev_b32_e32 v10, 4, v18
	v_cndmask_b32_e64 v11, v16, v17, s[8:9]
	v_or_b32_e32 v16, 0x4000, v10
	v_add_u32_e32 v17, 0x4020, v10
	v_and_b32_e32 v10, 15, v33
	v_cndmask_b32_e64 v11, v11, v21, s[26:27]
	v_cmp_eq_u32_e64 s[8:9], 0, v10
	v_cmp_lt_u32_e64 s[26:27], 1, v10
	v_cmp_lt_u32_e64 s[28:29], 3, v10
	;; [unrolled: 1-line block ×3, first 2 shown]
	v_and_b32_e32 v10, 16, v33
	v_cmp_eq_u32_e64 s[34:35], 0, v10
	v_and_b32_e32 v10, 0x3c0, v18
	v_min_u32_e32 v10, 0x1c0, v10
	v_or_b32_e32 v10, 63, v10
	v_cmp_eq_u32_e64 s[38:39], v10, v18
	v_add_u32_e32 v10, -1, v33
	v_cmp_lt_i32_e32 vcc, v10, v34
	v_cndmask_b32_e32 v10, v10, v33, vcc
	v_lshlrev_b32_e32 v21, 2, v10
	v_lshrrev_b32_e32 v10, 4, v18
	v_and_b32_e32 v10, 60, v10
	s_movk_i32 vcc_lo, 0xf00
	v_or_b32_e32 v31, 0x4000, v10
	v_add_u32_e32 v32, 0x3ffc, v10
	v_and_or_b32 v10, v19, vcc_lo, v33
	v_and_b32_e32 v13, 7, v33
	v_lshlrev_b32_e32 v10, 2, v10
	s_mov_b32 s53, 0
	v_cmp_lt_u32_e64 s[36:37], 31, v33
	v_cmp_gt_u32_e64 s[40:41], 8, v18
	v_cmp_eq_u32_e64 s[42:43], 0, v33
	v_cmp_eq_u32_e64 s[44:45], 0, v13
	v_cmp_lt_u32_e64 s[46:47], 1, v13
	v_cmp_lt_u32_e64 s[48:49], 3, v13
	v_or_b32_e32 v33, 0x4000, v10
	v_add_u32_e32 v35, 0x4100, v10
	v_or_b32_e32 v36, 0x4200, v10
	v_add_u32_e32 v38, 0x4300, v10
	v_mov_b32_e32 v10, 0
	s_brev_b32 s58, 1
	v_mov_b32_e32 v48, 0x4020
	s_barrier
	s_barrier
	s_branch .LBB5_526
.LBB5_525:                              ;   in Loop: Header=BB5_526 Depth=1
	v_lshlrev_b32_e32 v11, 2, v68
	v_lshlrev_b32_e32 v12, 2, v66
	;; [unrolled: 1-line block ×4, first 2 shown]
	s_barrier
	ds_write_b32 v11, v53 offset:16384
	ds_write_b32 v12, v52 offset:16384
	;; [unrolled: 1-line block ×4, first 2 shown]
	s_waitcnt lgkmcnt(0)
	s_barrier
	ds_read_b32 v14, v33
	ds_read_b32 v15, v35
	;; [unrolled: 1-line block ×4, first 2 shown]
	s_waitcnt lgkmcnt(0)
	s_barrier
	ds_write_b32 v11, v49 offset:16384
	ds_write_b32 v12, v39 offset:16384
	;; [unrolled: 1-line block ×4, first 2 shown]
	s_waitcnt lgkmcnt(0)
	s_barrier
	ds_read_b32 v64, v33
	ds_read_b32 v65, v35
	ds_read_b32 v11, v36
	ds_read_b32 v12, v38
	s_add_i32 s53, s53, 8
	s_waitcnt lgkmcnt(0)
	s_barrier
	s_cbranch_execz .LBB5_542
.LBB5_526:                              ; =>This Inner Loop Header: Depth=1
	v_mov_b32_e32 v53, v14
	v_cmp_ne_u32_e32 vcc, s58, v53
	v_mov_b32_e32 v37, v11
	v_cndmask_b32_e32 v11, v20, v53, vcc
	v_bfe_u32 v13, v11, s53, 8
	v_mov_b32_e32 v34, v12
	v_lshrrev_b32_e32 v12, s53, v11
	v_lshl_add_u32 v13, v13, 3, v27
	v_bfe_u32 v11, v11, s53, 1
	v_mov_b32_e32 v51, v54
	v_lshl_add_u32 v54, v13, 2, v48
	v_add_co_u32_e32 v13, vcc, -1, v11
	v_addc_co_u32_e64 v14, vcc, 0, -1, vcc
	v_cmp_ne_u32_e32 vcc, 0, v11
	v_xor_b32_e32 v11, vcc_hi, v14
	v_and_b32_e32 v14, exec_hi, v11
	v_lshlrev_b32_e32 v11, 30, v12
	v_xor_b32_e32 v13, vcc_lo, v13
	v_cmp_gt_i64_e32 vcc, 0, v[10:11]
	v_not_b32_e32 v11, v11
	v_ashrrev_i32_e32 v11, 31, v11
	v_mov_b32_e32 v52, v15
	v_and_b32_e32 v13, exec_lo, v13
	v_xor_b32_e32 v15, vcc_hi, v11
	v_xor_b32_e32 v11, vcc_lo, v11
	v_and_b32_e32 v13, v13, v11
	v_lshlrev_b32_e32 v11, 29, v12
	v_cmp_gt_i64_e32 vcc, 0, v[10:11]
	v_not_b32_e32 v11, v11
	v_ashrrev_i32_e32 v11, 31, v11
	v_and_b32_e32 v14, v14, v15
	v_xor_b32_e32 v15, vcc_hi, v11
	v_xor_b32_e32 v11, vcc_lo, v11
	v_and_b32_e32 v13, v13, v11
	v_lshlrev_b32_e32 v11, 28, v12
	v_cmp_gt_i64_e32 vcc, 0, v[10:11]
	v_not_b32_e32 v11, v11
	v_ashrrev_i32_e32 v11, 31, v11
	v_and_b32_e32 v14, v14, v15
	;; [unrolled: 8-line block ×5, first 2 shown]
	v_xor_b32_e32 v15, vcc_hi, v11
	v_xor_b32_e32 v11, vcc_lo, v11
	v_and_b32_e32 v14, v14, v15
	v_and_b32_e32 v15, v13, v11
	v_lshlrev_b32_e32 v11, 24, v12
	v_cmp_gt_i64_e32 vcc, 0, v[10:11]
	v_not_b32_e32 v11, v11
	v_ashrrev_i32_e32 v11, 31, v11
	v_xor_b32_e32 v12, vcc_hi, v11
	v_xor_b32_e32 v11, vcc_lo, v11
	v_and_b32_e32 v13, v14, v12
	v_and_b32_e32 v12, v15, v11
	v_mbcnt_lo_u32_b32 v11, v12, 0
	v_mov_b32_e32 v50, v55
	v_mbcnt_hi_u32_b32 v55, v13, v11
	v_cmp_eq_u32_e32 vcc, 0, v55
	v_cmp_ne_u64_e64 s[50:51], 0, v[12:13]
	v_mov_b32_e32 v39, v65
	v_mov_b32_e32 v49, v64
	s_and_b64 s[50:51], s[50:51], vcc
	ds_write2_b32 v16, v10, v10 offset0:8 offset1:9
	ds_write2_b32 v17, v10, v10 offset0:2 offset1:3
	s_waitcnt lgkmcnt(0)
	s_barrier
	s_waitcnt lgkmcnt(0)
	; wave barrier
	s_and_saveexec_b64 vcc, s[50:51]
	s_cbranch_execz .LBB5_528
; %bb.527:                              ;   in Loop: Header=BB5_526 Depth=1
	v_bcnt_u32_b32 v11, v12, 0
	v_bcnt_u32_b32 v11, v13, v11
	ds_write_b32 v54, v11
.LBB5_528:                              ;   in Loop: Header=BB5_526 Depth=1
	s_or_b64 exec, exec, vcc
	v_cmp_ne_u32_e32 vcc, s58, v52
	v_cndmask_b32_e32 v11, v20, v52, vcc
	v_bfe_u32 v13, v11, s53, 8
	v_lshlrev_b32_e32 v13, 3, v13
	v_lshrrev_b32_e32 v12, s53, v11
	v_add_lshl_u32 v13, v13, v27, 2
	v_bfe_u32 v11, v11, s53, 1
	; wave barrier
	v_add_u32_e32 v65, 0x4020, v13
	ds_read_b32 v64, v13 offset:16416
	v_add_co_u32_e32 v13, vcc, -1, v11
	v_addc_co_u32_e64 v14, vcc, 0, -1, vcc
	v_cmp_ne_u32_e32 vcc, 0, v11
	v_xor_b32_e32 v11, vcc_hi, v14
	v_and_b32_e32 v14, exec_hi, v11
	v_lshlrev_b32_e32 v11, 30, v12
	v_xor_b32_e32 v13, vcc_lo, v13
	v_cmp_gt_i64_e32 vcc, 0, v[10:11]
	v_not_b32_e32 v11, v11
	v_ashrrev_i32_e32 v11, 31, v11
	v_and_b32_e32 v13, exec_lo, v13
	v_xor_b32_e32 v15, vcc_hi, v11
	v_xor_b32_e32 v11, vcc_lo, v11
	v_and_b32_e32 v13, v13, v11
	v_lshlrev_b32_e32 v11, 29, v12
	v_cmp_gt_i64_e32 vcc, 0, v[10:11]
	v_not_b32_e32 v11, v11
	v_ashrrev_i32_e32 v11, 31, v11
	v_and_b32_e32 v14, v14, v15
	v_xor_b32_e32 v15, vcc_hi, v11
	v_xor_b32_e32 v11, vcc_lo, v11
	v_and_b32_e32 v13, v13, v11
	v_lshlrev_b32_e32 v11, 28, v12
	v_cmp_gt_i64_e32 vcc, 0, v[10:11]
	v_not_b32_e32 v11, v11
	v_ashrrev_i32_e32 v11, 31, v11
	v_and_b32_e32 v14, v14, v15
	;; [unrolled: 8-line block ×5, first 2 shown]
	v_xor_b32_e32 v15, vcc_hi, v11
	v_xor_b32_e32 v11, vcc_lo, v11
	v_and_b32_e32 v14, v14, v15
	v_and_b32_e32 v15, v13, v11
	v_lshlrev_b32_e32 v11, 24, v12
	v_cmp_gt_i64_e32 vcc, 0, v[10:11]
	v_not_b32_e32 v11, v11
	v_ashrrev_i32_e32 v11, 31, v11
	v_xor_b32_e32 v12, vcc_hi, v11
	v_xor_b32_e32 v11, vcc_lo, v11
	v_and_b32_e32 v13, v14, v12
	v_and_b32_e32 v12, v15, v11
	v_mbcnt_lo_u32_b32 v11, v12, 0
	v_mbcnt_hi_u32_b32 v66, v13, v11
	v_cmp_eq_u32_e32 vcc, 0, v66
	v_cmp_ne_u64_e64 s[50:51], 0, v[12:13]
	s_and_b64 s[50:51], s[50:51], vcc
	; wave barrier
	s_and_saveexec_b64 vcc, s[50:51]
	s_cbranch_execz .LBB5_530
; %bb.529:                              ;   in Loop: Header=BB5_526 Depth=1
	v_bcnt_u32_b32 v11, v12, 0
	v_bcnt_u32_b32 v11, v13, v11
	s_waitcnt lgkmcnt(0)
	v_add_u32_e32 v11, v64, v11
	ds_write_b32 v65, v11
.LBB5_530:                              ;   in Loop: Header=BB5_526 Depth=1
	s_or_b64 exec, exec, vcc
	v_cmp_ne_u32_e32 vcc, s58, v51
	v_cndmask_b32_e32 v11, v20, v51, vcc
	v_bfe_u32 v13, v11, s53, 8
	v_lshlrev_b32_e32 v13, 3, v13
	v_lshrrev_b32_e32 v12, s53, v11
	v_add_lshl_u32 v13, v13, v27, 2
	v_bfe_u32 v11, v11, s53, 1
	; wave barrier
	v_add_u32_e32 v68, 0x4020, v13
	ds_read_b32 v67, v13 offset:16416
	v_add_co_u32_e32 v13, vcc, -1, v11
	v_addc_co_u32_e64 v14, vcc, 0, -1, vcc
	v_cmp_ne_u32_e32 vcc, 0, v11
	v_xor_b32_e32 v11, vcc_hi, v14
	v_and_b32_e32 v14, exec_hi, v11
	v_lshlrev_b32_e32 v11, 30, v12
	v_xor_b32_e32 v13, vcc_lo, v13
	v_cmp_gt_i64_e32 vcc, 0, v[10:11]
	v_not_b32_e32 v11, v11
	v_ashrrev_i32_e32 v11, 31, v11
	v_and_b32_e32 v13, exec_lo, v13
	v_xor_b32_e32 v15, vcc_hi, v11
	v_xor_b32_e32 v11, vcc_lo, v11
	v_and_b32_e32 v13, v13, v11
	v_lshlrev_b32_e32 v11, 29, v12
	v_cmp_gt_i64_e32 vcc, 0, v[10:11]
	v_not_b32_e32 v11, v11
	v_ashrrev_i32_e32 v11, 31, v11
	v_and_b32_e32 v14, v14, v15
	v_xor_b32_e32 v15, vcc_hi, v11
	v_xor_b32_e32 v11, vcc_lo, v11
	v_and_b32_e32 v13, v13, v11
	v_lshlrev_b32_e32 v11, 28, v12
	v_cmp_gt_i64_e32 vcc, 0, v[10:11]
	v_not_b32_e32 v11, v11
	v_ashrrev_i32_e32 v11, 31, v11
	v_and_b32_e32 v14, v14, v15
	;; [unrolled: 8-line block ×5, first 2 shown]
	v_xor_b32_e32 v15, vcc_hi, v11
	v_xor_b32_e32 v11, vcc_lo, v11
	v_and_b32_e32 v14, v14, v15
	v_and_b32_e32 v15, v13, v11
	v_lshlrev_b32_e32 v11, 24, v12
	v_cmp_gt_i64_e32 vcc, 0, v[10:11]
	v_not_b32_e32 v11, v11
	v_ashrrev_i32_e32 v11, 31, v11
	v_xor_b32_e32 v12, vcc_hi, v11
	v_xor_b32_e32 v11, vcc_lo, v11
	v_and_b32_e32 v13, v14, v12
	v_and_b32_e32 v12, v15, v11
	v_mbcnt_lo_u32_b32 v11, v12, 0
	v_mbcnt_hi_u32_b32 v69, v13, v11
	v_cmp_eq_u32_e32 vcc, 0, v69
	v_cmp_ne_u64_e64 s[50:51], 0, v[12:13]
	s_and_b64 s[50:51], s[50:51], vcc
	; wave barrier
	s_and_saveexec_b64 vcc, s[50:51]
	s_cbranch_execz .LBB5_532
; %bb.531:                              ;   in Loop: Header=BB5_526 Depth=1
	v_bcnt_u32_b32 v11, v12, 0
	v_bcnt_u32_b32 v11, v13, v11
	s_waitcnt lgkmcnt(0)
	v_add_u32_e32 v11, v67, v11
	ds_write_b32 v68, v11
.LBB5_532:                              ;   in Loop: Header=BB5_526 Depth=1
	s_or_b64 exec, exec, vcc
	v_cmp_ne_u32_e32 vcc, s58, v50
	v_cndmask_b32_e32 v11, v20, v50, vcc
	v_bfe_u32 v13, v11, s53, 8
	v_lshlrev_b32_e32 v13, 3, v13
	v_lshrrev_b32_e32 v12, s53, v11
	v_add_lshl_u32 v13, v13, v27, 2
	v_bfe_u32 v11, v11, s53, 1
	; wave barrier
	v_add_u32_e32 v71, 0x4020, v13
	ds_read_b32 v70, v13 offset:16416
	v_add_co_u32_e32 v13, vcc, -1, v11
	v_addc_co_u32_e64 v14, vcc, 0, -1, vcc
	v_cmp_ne_u32_e32 vcc, 0, v11
	v_xor_b32_e32 v11, vcc_hi, v14
	v_and_b32_e32 v14, exec_hi, v11
	v_lshlrev_b32_e32 v11, 30, v12
	v_xor_b32_e32 v13, vcc_lo, v13
	v_cmp_gt_i64_e32 vcc, 0, v[10:11]
	v_not_b32_e32 v11, v11
	v_ashrrev_i32_e32 v11, 31, v11
	v_and_b32_e32 v13, exec_lo, v13
	v_xor_b32_e32 v15, vcc_hi, v11
	v_xor_b32_e32 v11, vcc_lo, v11
	v_and_b32_e32 v13, v13, v11
	v_lshlrev_b32_e32 v11, 29, v12
	v_cmp_gt_i64_e32 vcc, 0, v[10:11]
	v_not_b32_e32 v11, v11
	v_ashrrev_i32_e32 v11, 31, v11
	v_and_b32_e32 v14, v14, v15
	v_xor_b32_e32 v15, vcc_hi, v11
	v_xor_b32_e32 v11, vcc_lo, v11
	v_and_b32_e32 v13, v13, v11
	v_lshlrev_b32_e32 v11, 28, v12
	v_cmp_gt_i64_e32 vcc, 0, v[10:11]
	v_not_b32_e32 v11, v11
	v_ashrrev_i32_e32 v11, 31, v11
	v_and_b32_e32 v14, v14, v15
	;; [unrolled: 8-line block ×5, first 2 shown]
	v_xor_b32_e32 v15, vcc_hi, v11
	v_xor_b32_e32 v11, vcc_lo, v11
	v_and_b32_e32 v14, v14, v15
	v_and_b32_e32 v15, v13, v11
	v_lshlrev_b32_e32 v11, 24, v12
	v_cmp_gt_i64_e32 vcc, 0, v[10:11]
	v_not_b32_e32 v11, v11
	v_ashrrev_i32_e32 v11, 31, v11
	v_xor_b32_e32 v12, vcc_hi, v11
	v_xor_b32_e32 v11, vcc_lo, v11
	v_and_b32_e32 v13, v14, v12
	v_and_b32_e32 v12, v15, v11
	v_mbcnt_lo_u32_b32 v11, v12, 0
	v_mbcnt_hi_u32_b32 v11, v13, v11
	v_cmp_eq_u32_e32 vcc, 0, v11
	v_cmp_ne_u64_e64 s[50:51], 0, v[12:13]
	s_and_b64 s[50:51], s[50:51], vcc
	; wave barrier
	s_and_saveexec_b64 vcc, s[50:51]
	s_cbranch_execz .LBB5_534
; %bb.533:                              ;   in Loop: Header=BB5_526 Depth=1
	v_bcnt_u32_b32 v12, v12, 0
	v_bcnt_u32_b32 v12, v13, v12
	s_waitcnt lgkmcnt(0)
	v_add_u32_e32 v12, v70, v12
	ds_write_b32 v71, v12
.LBB5_534:                              ;   in Loop: Header=BB5_526 Depth=1
	s_or_b64 exec, exec, vcc
	; wave barrier
	s_waitcnt lgkmcnt(0)
	s_barrier
	ds_read2_b32 v[14:15], v16 offset0:8 offset1:9
	ds_read2_b32 v[12:13], v17 offset0:2 offset1:3
	s_waitcnt lgkmcnt(1)
	v_add_u32_e32 v80, v15, v14
	s_waitcnt lgkmcnt(0)
	v_add3_u32 v13, v80, v12, v13
	s_nop 1
	v_mov_b32_dpp v80, v13 row_shr:1 row_mask:0xf bank_mask:0xf
	v_cndmask_b32_e64 v80, v80, 0, s[8:9]
	v_add_u32_e32 v13, v80, v13
	s_nop 1
	v_mov_b32_dpp v80, v13 row_shr:2 row_mask:0xf bank_mask:0xf
	v_cndmask_b32_e64 v80, 0, v80, s[26:27]
	v_add_u32_e32 v13, v13, v80
	;; [unrolled: 4-line block ×4, first 2 shown]
	s_nop 1
	v_mov_b32_dpp v80, v13 row_bcast:15 row_mask:0xf bank_mask:0xf
	v_cndmask_b32_e64 v80, v80, 0, s[34:35]
	v_add_u32_e32 v13, v13, v80
	s_nop 1
	v_mov_b32_dpp v80, v13 row_bcast:31 row_mask:0xf bank_mask:0xf
	v_cndmask_b32_e64 v80, 0, v80, s[36:37]
	v_add_u32_e32 v13, v13, v80
	s_and_saveexec_b64 vcc, s[38:39]
	s_cbranch_execz .LBB5_536
; %bb.535:                              ;   in Loop: Header=BB5_526 Depth=1
	ds_write_b32 v31, v13
.LBB5_536:                              ;   in Loop: Header=BB5_526 Depth=1
	s_or_b64 exec, exec, vcc
	s_waitcnt lgkmcnt(0)
	s_barrier
	s_and_saveexec_b64 vcc, s[40:41]
	s_cbranch_execz .LBB5_538
; %bb.537:                              ;   in Loop: Header=BB5_526 Depth=1
	ds_read_b32 v80, v28
	s_waitcnt lgkmcnt(0)
	s_nop 0
	v_mov_b32_dpp v81, v80 row_shr:1 row_mask:0xf bank_mask:0xf
	v_cndmask_b32_e64 v81, v81, 0, s[44:45]
	v_add_u32_e32 v80, v81, v80
	s_nop 1
	v_mov_b32_dpp v81, v80 row_shr:2 row_mask:0xf bank_mask:0xf
	v_cndmask_b32_e64 v81, 0, v81, s[46:47]
	v_add_u32_e32 v80, v80, v81
	;; [unrolled: 4-line block ×3, first 2 shown]
	ds_write_b32 v28, v80
.LBB5_538:                              ;   in Loop: Header=BB5_526 Depth=1
	s_or_b64 exec, exec, vcc
	v_mov_b32_e32 v80, 0
	s_waitcnt lgkmcnt(0)
	s_barrier
	s_and_saveexec_b64 vcc, s[22:23]
	s_cbranch_execz .LBB5_540
; %bb.539:                              ;   in Loop: Header=BB5_526 Depth=1
	ds_read_b32 v80, v32
.LBB5_540:                              ;   in Loop: Header=BB5_526 Depth=1
	s_or_b64 exec, exec, vcc
	s_waitcnt lgkmcnt(0)
	v_add_u32_e32 v13, v80, v13
	ds_bpermute_b32 v13, v21, v13
	s_cmp_gt_u32 s53, 23
	s_waitcnt lgkmcnt(0)
	v_cndmask_b32_e64 v13, v13, v80, s[42:43]
	v_cndmask_b32_e64 v13, v13, 0, s[10:11]
	v_add_u32_e32 v14, v13, v14
	v_add_u32_e32 v15, v14, v15
	;; [unrolled: 1-line block ×3, first 2 shown]
	ds_write2_b32 v16, v13, v14 offset0:8 offset1:9
	ds_write2_b32 v17, v15, v12 offset0:2 offset1:3
	s_waitcnt lgkmcnt(0)
	s_barrier
	ds_read_b32 v12, v54
	ds_read_b32 v13, v65
	;; [unrolled: 1-line block ×4, first 2 shown]
	s_waitcnt lgkmcnt(3)
	v_add_u32_e32 v68, v12, v55
	s_waitcnt lgkmcnt(2)
	v_add3_u32 v66, v66, v64, v13
	s_waitcnt lgkmcnt(1)
	v_add3_u32 v13, v69, v67, v14
	s_waitcnt lgkmcnt(0)
	v_add3_u32 v67, v11, v70, v15
	s_cbranch_scc0 .LBB5_525
; %bb.541:
                                        ; implicit-def: $vgpr55
                                        ; implicit-def: $vgpr54
                                        ; implicit-def: $vgpr15
                                        ; implicit-def: $vgpr14
                                        ; implicit-def: $vgpr12
                                        ; implicit-def: $vgpr11
                                        ; implicit-def: $vgpr65
                                        ; implicit-def: $vgpr64
                                        ; implicit-def: $sgpr53
.LBB5_542:
	v_lshlrev_b32_e32 v10, 2, v68
	v_lshlrev_b32_e32 v11, 2, v66
	;; [unrolled: 1-line block ×4, first 2 shown]
	s_barrier
	ds_write_b32 v10, v53 offset:16384
	ds_write_b32 v11, v52 offset:16384
	;; [unrolled: 1-line block ×4, first 2 shown]
	s_waitcnt lgkmcnt(0)
	s_barrier
	s_barrier
	ds_write_b32 v10, v49 offset:16384
	ds_write_b32 v11, v39 offset:16384
	;; [unrolled: 1-line block ×4, first 2 shown]
	v_mov_b32_e32 v10, 0
	s_waitcnt lgkmcnt(0)
	s_barrier
	ds_read_b32 v13, v10 offset:33048
	ds_read_b32 v12, v28 offset:6144
	ds_read2st64_b32 v[10:11], v28 offset0:8 offset1:16
	s_waitcnt lgkmcnt(2)
	v_add_u32_e32 v13, v13, v18
	v_cmp_lt_i32_e32 vcc, v13, v7
	s_and_saveexec_b64 s[8:9], vcc
	s_cbranch_execz .LBB5_544
; %bb.543:
	s_ashr_i32 s53, s52, 31
	s_lshl_b64 s[22:23], s[52:53], 2
	s_getpc_b64 s[26:27]
	s_add_u32 s26, s26, llvm.amdgcn.dynlds.offset.table@rel32@lo+4
	s_addc_u32 s27, s27, llvm.amdgcn.dynlds.offset.table@rel32@hi+12
	s_add_u32 s22, s22, s26
	s_addc_u32 s23, s23, s27
	s_load_dword s22, s[22:23], 0x0
	ds_read_b32 v14, v28
	s_waitcnt lgkmcnt(0)
	v_lshl_add_u32 v15, v13, 2, s22
	ds_write_b32 v15, v14
.LBB5_544:
	s_or_b64 exec, exec, s[8:9]
	v_add_u32_e32 v14, 0x200, v13
	v_cmp_lt_i32_e32 vcc, v14, v7
	s_and_saveexec_b64 s[8:9], vcc
	s_cbranch_execz .LBB5_546
; %bb.545:
	s_ashr_i32 s53, s52, 31
	s_lshl_b64 s[22:23], s[52:53], 2
	s_getpc_b64 s[26:27]
	s_add_u32 s26, s26, llvm.amdgcn.dynlds.offset.table@rel32@lo+4
	s_addc_u32 s27, s27, llvm.amdgcn.dynlds.offset.table@rel32@hi+12
	s_add_u32 s22, s22, s26
	s_addc_u32 s23, s23, s27
	s_load_dword s22, s[22:23], 0x0
	s_waitcnt lgkmcnt(0)
	v_lshl_add_u32 v14, v13, 2, s22
	ds_write_b32 v14, v10 offset:2048
.LBB5_546:
	s_or_b64 exec, exec, s[8:9]
	s_waitcnt lgkmcnt(0)
	v_add_u32_e32 v10, 0x400, v13
	v_cmp_lt_i32_e32 vcc, v10, v7
	s_and_saveexec_b64 s[8:9], vcc
	s_cbranch_execz .LBB5_548
; %bb.547:
	s_ashr_i32 s53, s52, 31
	s_lshl_b64 s[22:23], s[52:53], 2
	s_getpc_b64 s[26:27]
	s_add_u32 s26, s26, llvm.amdgcn.dynlds.offset.table@rel32@lo+4
	s_addc_u32 s27, s27, llvm.amdgcn.dynlds.offset.table@rel32@hi+12
	s_add_u32 s22, s22, s26
	s_addc_u32 s23, s23, s27
	s_load_dword s22, s[22:23], 0x0
	s_waitcnt lgkmcnt(0)
	v_lshl_add_u32 v10, v13, 2, s22
	ds_write_b32 v10, v11 offset:4096
.LBB5_548:
	s_or_b64 exec, exec, s[8:9]
	v_add_u32_e32 v10, 0x600, v13
	v_cmp_lt_i32_e32 vcc, v10, v7
	s_and_saveexec_b64 s[8:9], vcc
	s_cbranch_execz .LBB5_550
; %bb.549:
	s_ashr_i32 s53, s52, 31
	s_lshl_b64 s[22:23], s[52:53], 2
	s_getpc_b64 s[26:27]
	s_add_u32 s26, s26, llvm.amdgcn.dynlds.offset.table@rel32@lo+4
	s_addc_u32 s27, s27, llvm.amdgcn.dynlds.offset.table@rel32@hi+12
	s_add_u32 s22, s22, s26
	s_addc_u32 s23, s23, s27
	s_load_dword s22, s[22:23], 0x0
	s_waitcnt lgkmcnt(0)
	v_lshl_add_u32 v10, v13, 2, s22
	ds_write_b32 v10, v12 offset:6144
.LBB5_550:
	s_or_b64 exec, exec, s[8:9]
	s_mov_b64 s[8:9], 0
	s_waitcnt lgkmcnt(0)
	s_barrier
.LBB5_551:
	s_and_b64 vcc, exec, s[8:9]
	s_cbranch_vccnz .LBB5_553
; %bb.552:
	v_cmp_lt_i32_e32 vcc, v18, v7
	s_and_saveexec_b64 s[6:7], vcc
	s_cbranch_execnz .LBB5_737
	s_branch .LBB5_739
.LBB5_553:
	v_mov_b32_e32 v10, 0
	ds_write_b32 v28, v10 offset:2112
	ds_write_b32 v23, v10 offset:2048
	s_and_saveexec_b64 s[8:9], s[20:21]
	s_cbranch_execz .LBB5_555
; %bb.554:
	ds_write_b32 v23, v10 offset:4096
.LBB5_555:
	s_or_b64 exec, exec, s[8:9]
	s_and_saveexec_b64 s[8:9], s[18:19]
	s_cbranch_execz .LBB5_557
; %bb.556:
	v_mov_b32_e32 v10, 0
	ds_write_b32 v23, v10 offset:6144
.LBB5_557:
	s_or_b64 exec, exec, s[8:9]
	v_lshlrev_b32_e32 v10, 10, v29
	v_and_b32_e32 v10, 0x1ffc00, v10
	v_or_b32_e32 v20, v10, v30
	s_waitcnt lgkmcnt(0)
	s_barrier
	s_and_saveexec_b64 s[8:9], s[6:7]
	s_xor_b64 s[8:9], exec, s[8:9]
	s_cbranch_execz .LBB5_564
; %bb.558:
	v_add_u32_e32 v12, v18, v2
	v_cmp_lt_i32_e32 vcc, v12, v8
	s_and_saveexec_b64 s[18:19], vcc
	s_cbranch_execz .LBB5_563
; %bb.559:
	v_mul_lo_u32 v10, v6, v12
	v_lshlrev_b32_e32 v13, 9, v6
	s_mov_b64 s[20:21], 0
	s_movk_i32 s26, 0x400
	v_mov_b32_e32 v14, 1
	s_branch .LBB5_561
.LBB5_560:                              ;   in Loop: Header=BB5_561 Depth=1
	s_or_b64 exec, exec, s[22:23]
	v_add_u32_e32 v12, 0x200, v12
	v_cmp_ge_i32_e32 vcc, v12, v8
	s_or_b64 s[20:21], vcc, s[20:21]
	v_add_u32_e32 v10, v10, v13
	s_andn2_b64 exec, exec, s[20:21]
	s_cbranch_execz .LBB5_563
.LBB5_561:                              ; =>This Inner Loop Header: Depth=1
	v_ashrrev_i32_e32 v11, 31, v10
	v_lshlrev_b64 v[16:17], 2, v[10:11]
	v_add_co_u32_e32 v16, vcc, v0, v16
	v_addc_co_u32_e32 v17, vcc, v1, v17, vcc
	flat_load_dword v11, v[16:17]
	s_waitcnt vmcnt(0) lgkmcnt(0)
	v_not_b32_e32 v15, v11
	v_and_b32_e32 v16, 0x7ffffc00, v15
	v_cmp_gt_i32_e32 vcc, 0, v11
	v_cndmask_b32_e32 v16, v16, v11, vcc
	v_xor_b32_e32 v16, v16, v20
	v_cmp_gt_u32_e32 vcc, s26, v16
	s_and_saveexec_b64 s[22:23], vcc
	s_cbranch_execz .LBB5_560
; %bb.562:                              ;   in Loop: Header=BB5_561 Depth=1
	v_ashrrev_i32_e32 v15, 31, v15
	v_xor_b32_e32 v11, v11, v15
	v_and_b32_e32 v11, 0x3ff, v11
	v_lshlrev_b32_e32 v11, 2, v11
	ds_add_u32 v11, v14 offset:18496
	s_branch .LBB5_560
.LBB5_563:
	s_or_b64 exec, exec, s[18:19]
.LBB5_564:
	s_andn2_saveexec_b64 s[18:19], s[8:9]
	s_cbranch_execz .LBB5_583
; %bb.565:
	v_lshlrev_b64 v[10:11], 2, v[2:3]
	v_add_co_u32_e32 v21, vcc, v0, v10
	v_and_b32_e32 v12, 15, v21
	v_addc_co_u32_e32 v29, vcc, v1, v11, vcc
	v_mov_b32_e32 v13, 0
	v_sub_u32_e32 v14, 16, v12
	v_lshrrev_b32_e32 v14, 2, v14
	v_cmp_ne_u64_e32 vcc, 0, v[12:13]
	v_cndmask_b32_e32 v12, 0, v14, vcc
	v_min_i32_e32 v14, v12, v22
	v_sub_u32_e32 v12, v22, v14
	v_ashrrev_i32_e32 v13, 31, v12
	v_lshrrev_b32_e32 v13, 30, v13
	v_add_u32_e32 v12, v12, v13
	v_ashrrev_i32_e32 v30, 2, v12
	s_mov_b64 s[20:21], 0
	v_ashrrev_i32_e32 v15, 31, v14
	v_cmp_gt_i32_e32 vcc, v30, v18
	s_and_saveexec_b64 s[22:23], vcc
	s_cbranch_execz .LBB5_576
; %bb.566:
	v_lshlrev_b32_e32 v16, 4, v18
	v_lshlrev_b64 v[12:13], 2, v[14:15]
	v_add_co_u32_e32 v12, vcc, v16, v12
	v_addc_co_u32_e32 v13, vcc, 0, v13, vcc
	v_add_co_u32_e32 v10, vcc, v12, v10
	v_addc_co_u32_e32 v11, vcc, v13, v11, vcc
	v_add_co_u32_e32 v16, vcc, v0, v10
	v_addc_co_u32_e32 v17, vcc, v1, v11, vcc
	s_movk_i32 s26, 0x400
	v_mov_b32_e32 v15, 1
	v_mov_b32_e32 v31, v18
	s_branch .LBB5_568
.LBB5_567:                              ;   in Loop: Header=BB5_568 Depth=1
	s_or_b64 exec, exec, s[8:9]
	v_add_u32_e32 v31, 0x200, v31
	v_add_co_u32_e32 v16, vcc, 0x2000, v16
	v_cmp_ge_i32_e64 s[8:9], v31, v30
	s_or_b64 s[20:21], s[8:9], s[20:21]
	v_addc_co_u32_e32 v17, vcc, 0, v17, vcc
	s_andn2_b64 exec, exec, s[20:21]
	s_cbranch_execz .LBB5_576
.LBB5_568:                              ; =>This Inner Loop Header: Depth=1
	flat_load_dwordx4 v[10:13], v[16:17]
	s_waitcnt vmcnt(0) lgkmcnt(0)
	v_not_b32_e32 v32, v10
	v_and_b32_e32 v33, 0x7ffffc00, v32
	v_cmp_gt_i32_e32 vcc, 0, v10
	v_cndmask_b32_e32 v33, v33, v10, vcc
	v_xor_b32_e32 v33, v33, v20
	v_cmp_gt_u32_e32 vcc, s26, v33
	s_and_saveexec_b64 s[8:9], vcc
	s_cbranch_execz .LBB5_570
; %bb.569:                              ;   in Loop: Header=BB5_568 Depth=1
	v_ashrrev_i32_e32 v32, 31, v32
	v_xor_b32_e32 v10, v10, v32
	v_and_b32_e32 v10, 0x3ff, v10
	v_lshlrev_b32_e32 v10, 2, v10
	ds_add_u32 v10, v15 offset:18496
.LBB5_570:                              ;   in Loop: Header=BB5_568 Depth=1
	s_or_b64 exec, exec, s[8:9]
	v_not_b32_e32 v10, v11
	v_and_b32_e32 v32, 0x7ffffc00, v10
	v_cmp_gt_i32_e32 vcc, 0, v11
	v_cndmask_b32_e32 v32, v32, v11, vcc
	v_xor_b32_e32 v32, v32, v20
	v_cmp_gt_u32_e32 vcc, s26, v32
	s_and_saveexec_b64 s[8:9], vcc
	s_cbranch_execz .LBB5_572
; %bb.571:                              ;   in Loop: Header=BB5_568 Depth=1
	v_ashrrev_i32_e32 v10, 31, v10
	v_xor_b32_e32 v10, v11, v10
	v_and_b32_e32 v10, 0x3ff, v10
	v_lshlrev_b32_e32 v10, 2, v10
	ds_add_u32 v10, v15 offset:18496
.LBB5_572:                              ;   in Loop: Header=BB5_568 Depth=1
	s_or_b64 exec, exec, s[8:9]
	;; [unrolled: 16-line block ×3, first 2 shown]
	v_not_b32_e32 v10, v13
	v_and_b32_e32 v11, 0x7ffffc00, v10
	v_cmp_gt_i32_e32 vcc, 0, v13
	v_cndmask_b32_e32 v11, v11, v13, vcc
	v_xor_b32_e32 v11, v11, v20
	v_cmp_gt_u32_e32 vcc, s26, v11
	s_and_saveexec_b64 s[8:9], vcc
	s_cbranch_execz .LBB5_567
; %bb.575:                              ;   in Loop: Header=BB5_568 Depth=1
	v_ashrrev_i32_e32 v10, 31, v10
	v_xor_b32_e32 v10, v13, v10
	v_and_b32_e32 v10, 0x3ff, v10
	v_lshlrev_b32_e32 v10, 2, v10
	ds_add_u32 v10, v15 offset:18496
	s_branch .LBB5_567
.LBB5_576:
	s_or_b64 exec, exec, s[22:23]
	v_cmp_gt_u32_e32 vcc, v14, v18
	s_and_saveexec_b64 s[8:9], vcc
	s_cbranch_execz .LBB5_579
; %bb.577:
	v_add_co_u32_e32 v10, vcc, v21, v19
	v_addc_co_u32_e32 v11, vcc, 0, v29, vcc
	flat_load_dword v10, v[10:11]
	s_movk_i32 s20, 0x400
	s_waitcnt vmcnt(0) lgkmcnt(0)
	v_not_b32_e32 v11, v10
	v_and_b32_e32 v12, 0x7ffffc00, v11
	v_cmp_gt_i32_e32 vcc, 0, v10
	v_cndmask_b32_e32 v12, v12, v10, vcc
	v_xor_b32_e32 v12, v12, v20
	v_cmp_gt_u32_e32 vcc, s20, v12
	s_and_b64 exec, exec, vcc
	s_cbranch_execz .LBB5_579
; %bb.578:
	v_ashrrev_i32_e32 v11, 31, v11
	v_xor_b32_e32 v10, v10, v11
	v_and_b32_e32 v10, 0x3ff, v10
	v_lshlrev_b32_e32 v10, 2, v10
	v_mov_b32_e32 v11, 1
	ds_add_u32 v10, v11 offset:18496
.LBB5_579:
	s_or_b64 exec, exec, s[8:9]
	v_lshlrev_b32_e32 v10, 2, v30
	v_add3_u32 v10, v14, v18, v10
	v_cmp_lt_i32_e32 vcc, v10, v22
	s_and_saveexec_b64 s[8:9], vcc
	s_cbranch_execz .LBB5_582
; %bb.580:
	v_ashrrev_i32_e32 v11, 31, v10
	v_lshlrev_b64 v[10:11], 2, v[10:11]
	v_add_co_u32_e32 v10, vcc, v21, v10
	v_addc_co_u32_e32 v11, vcc, v29, v11, vcc
	flat_load_dword v10, v[10:11]
	s_movk_i32 s20, 0x400
	s_waitcnt vmcnt(0) lgkmcnt(0)
	v_not_b32_e32 v11, v10
	v_and_b32_e32 v12, 0x7ffffc00, v11
	v_cmp_gt_i32_e32 vcc, 0, v10
	v_cndmask_b32_e32 v12, v12, v10, vcc
	v_xor_b32_e32 v12, v12, v20
	v_cmp_gt_u32_e32 vcc, s20, v12
	s_and_b64 exec, exec, vcc
	s_cbranch_execz .LBB5_582
; %bb.581:
	v_ashrrev_i32_e32 v11, 31, v11
	v_xor_b32_e32 v10, v10, v11
	v_and_b32_e32 v10, 0x3ff, v10
	v_lshlrev_b32_e32 v10, 2, v10
	v_mov_b32_e32 v11, 1
	ds_add_u32 v10, v11 offset:18496
.LBB5_582:
	s_or_b64 exec, exec, s[8:9]
.LBB5_583:
	s_or_b64 exec, exec, s[18:19]
	s_waitcnt lgkmcnt(0)
	s_barrier
	v_mov_b32_e32 v11, 0
	ds_read_b32 v12, v28 offset:2112
	ds_read_b32 v10, v11 offset:33048
	s_waitcnt lgkmcnt(0)
	s_barrier
	ds_write_b32 v26, v12
	s_waitcnt lgkmcnt(0)
	s_barrier
	s_and_saveexec_b64 s[8:9], s[12:13]
	s_cbranch_execz .LBB5_585
; %bb.584:
	ds_read2_b32 v[14:15], v24 offset1:1
	ds_read2_b32 v[16:17], v24 offset0:2 offset1:3
	ds_read2_b32 v[30:31], v24 offset0:4 offset1:5
	;; [unrolled: 1-line block ×3, first 2 shown]
	v_mbcnt_lo_u32_b32 v13, -1, 0
	s_waitcnt lgkmcnt(3)
	v_add_u32_e32 v21, v15, v14
	s_waitcnt lgkmcnt(2)
	v_add3_u32 v21, v21, v16, v17
	s_waitcnt lgkmcnt(1)
	v_add3_u32 v21, v21, v30, v31
	v_mbcnt_hi_u32_b32 v13, -1, v13
	s_waitcnt lgkmcnt(0)
	v_add3_u32 v21, v21, v32, v33
	v_and_b32_e32 v29, 15, v13
	v_cmp_ne_u32_e32 vcc, 0, v29
	v_mov_b32_dpp v34, v21 row_shr:1 row_mask:0xf bank_mask:0xf
	v_cndmask_b32_e32 v34, 0, v34, vcc
	v_add_u32_e32 v21, v34, v21
	v_cmp_lt_u32_e32 vcc, 1, v29
	s_nop 0
	v_mov_b32_dpp v34, v21 row_shr:2 row_mask:0xf bank_mask:0xf
	v_cndmask_b32_e32 v34, 0, v34, vcc
	v_add_u32_e32 v21, v21, v34
	v_cmp_lt_u32_e32 vcc, 3, v29
	s_nop 0
	;; [unrolled: 5-line block ×3, first 2 shown]
	v_mov_b32_dpp v34, v21 row_shr:8 row_mask:0xf bank_mask:0xf
	v_cndmask_b32_e32 v29, 0, v34, vcc
	v_add_u32_e32 v21, v21, v29
	v_bfe_i32 v34, v13, 4, 1
	v_cmp_lt_u32_e32 vcc, 31, v13
	v_mov_b32_dpp v29, v21 row_bcast:15 row_mask:0xf bank_mask:0xf
	v_and_b32_e32 v29, v34, v29
	v_add_u32_e32 v21, v21, v29
	v_and_b32_e32 v34, 64, v13
	s_nop 0
	v_mov_b32_dpp v29, v21 row_bcast:31 row_mask:0xf bank_mask:0xf
	v_cndmask_b32_e32 v29, 0, v29, vcc
	v_add_u32_e32 v21, v21, v29
	v_add_u32_e32 v29, -1, v13
	v_cmp_lt_i32_e32 vcc, v29, v34
	v_cndmask_b32_e32 v13, v29, v13, vcc
	v_lshlrev_b32_e32 v13, 2, v13
	ds_bpermute_b32 v13, v13, v21
	s_waitcnt lgkmcnt(0)
	v_add_u32_e32 v13, v13, v14
	v_cndmask_b32_e64 v12, v13, v12, s[10:11]
	v_add_u32_e32 v13, v12, v15
	ds_write2_b32 v24, v12, v13 offset1:1
	v_add_u32_e32 v12, v13, v16
	v_add_u32_e32 v13, v12, v17
	ds_write2_b32 v24, v12, v13 offset0:2 offset1:3
	v_add_u32_e32 v12, v13, v30
	v_add_u32_e32 v13, v12, v31
	ds_write2_b32 v24, v12, v13 offset0:4 offset1:5
	;; [unrolled: 3-line block ×3, first 2 shown]
.LBB5_585:
	s_or_b64 exec, exec, s[8:9]
	s_waitcnt lgkmcnt(0)
	s_barrier
	s_and_saveexec_b64 s[8:9], s[24:25]
	s_cbranch_execz .LBB5_587
; %bb.586:
	ds_read_b32 v11, v25
.LBB5_587:
	s_or_b64 exec, exec, s[8:9]
	v_mov_b32_e32 v12, 0
	ds_read_b32 v13, v12 offset:18488
	s_waitcnt lgkmcnt(1)
	v_add_u32_e32 v11, v11, v10
	v_cmp_lt_i32_e32 vcc, v11, v7
	ds_write_b32 v28, v11 offset:2112
	s_waitcnt lgkmcnt(0)
	v_add_u32_e32 v10, v13, v10
	s_barrier
	s_and_saveexec_b64 s[8:9], vcc
	s_cbranch_execz .LBB5_593
; %bb.588:
	v_mov_b32_e32 v13, v10
	s_and_saveexec_b64 s[18:19], s[14:15]
	s_cbranch_execz .LBB5_590
; %bb.589:
	ds_read_b32 v13, v23 offset:4
.LBB5_590:
	s_or_b64 exec, exec, s[18:19]
	s_waitcnt lgkmcnt(0)
	v_cmp_ge_i32_e32 vcc, v13, v7
	v_mov_b32_e32 v12, 0
	s_and_saveexec_b64 s[18:19], vcc
	s_cbranch_execz .LBB5_592
; %bb.591:
	s_mov_b32 s20, 0x8000
	v_sub_u32_e32 v11, v13, v11
	v_add_u32_e64 v12, s20, 0
	ds_write2_b32 v12, v11, v18 offset0:69 offset1:71
	v_mov_b32_e32 v12, 1
.LBB5_592:
	s_or_b64 exec, exec, s[18:19]
.LBB5_593:
	s_or_b64 exec, exec, s[8:9]
	v_or_b32_dpp v11, v12, v12 row_shl:1 row_mask:0xf bank_mask:0xf bound_ctrl:1
	s_bitcmp1_b32 exec_hi, 0
	s_nop 0
	v_or_b32_dpp v11, v11, v11 row_shl:2 row_mask:0xf bank_mask:0xf bound_ctrl:1
	s_nop 1
	v_or_b32_dpp v11, v11, v11 row_shl:4 row_mask:0xf bank_mask:0xf bound_ctrl:1
	;; [unrolled: 2-line block ×3, first 2 shown]
	s_nop 1
	v_mov_b32_dpp v12, v11 wave_shl:1 row_mask:0xf bank_mask:0xf bound_ctrl:1
	s_nop 1
	v_or_b32_dpp v11, v12, v11 row_mirror row_mask:0xf bank_mask:0xf bound_ctrl:1
	v_readlane_b32 s8, v11, 32
	s_cselect_b32 s8, s8, 0
	v_readlane_b32 s9, v11, 0
	s_or_b32 s20, s8, s9
	v_cndmask_b32_e64 v11, 0, 1, s[56:57]
	v_cmp_ne_u32_e64 s[8:9], 1, v11
	s_andn2_b64 vcc, exec, s[56:57]
	v_mov_b32_e32 v11, s20
	s_cbranch_vccnz .LBB5_600
; %bb.594:
	v_mbcnt_lo_u32_b32 v11, -1, 0
	v_mbcnt_hi_u32_b32 v11, -1, v11
	v_or_b32_e32 v12, v11, v27
	v_cmp_eq_u32_e32 vcc, 0, v12
	s_and_saveexec_b64 s[18:19], vcc
	s_cbranch_execz .LBB5_596
; %bb.595:
	v_mov_b32_e32 v12, 0
	v_mov_b32_e32 v13, s20
	ds_write_b32 v12, v13 offset:32768
.LBB5_596:
	s_or_b64 exec, exec, s[18:19]
	v_cmp_eq_u32_e32 vcc, 0, v11
	s_and_b64 s[22:23], s[16:17], vcc
	s_waitcnt lgkmcnt(0)
	s_barrier
	s_and_saveexec_b64 s[18:19], s[22:23]
	s_cbranch_execz .LBB5_599
; %bb.597:
	v_mbcnt_lo_u32_b32 v11, exec_lo, 0
	v_mbcnt_hi_u32_b32 v11, exec_hi, v11
	v_cmp_eq_u32_e32 vcc, 0, v11
	s_and_b64 exec, exec, vcc
	s_cbranch_execz .LBB5_599
; %bb.598:
	v_mov_b32_e32 v11, 0
	v_mov_b32_e32 v12, s20
	ds_or_b32 v11, v12 offset:32768
.LBB5_599:
	s_or_b64 exec, exec, s[18:19]
	v_mov_b32_e32 v11, 0
	s_waitcnt lgkmcnt(0)
	s_barrier
	ds_read_b32 v11, v11 offset:32768
	s_waitcnt lgkmcnt(0)
	s_barrier
.LBB5_600:
	v_cmp_eq_u32_e32 vcc, 0, v11
	s_cbranch_vccz .LBB5_654
; %bb.601:
	ds_read_b32 v11, v23 offset:2048
	s_waitcnt lgkmcnt(0)
	s_barrier
	ds_write_b32 v26, v11
	s_waitcnt lgkmcnt(0)
	s_barrier
	s_and_saveexec_b64 s[18:19], s[12:13]
	s_cbranch_execz .LBB5_603
; %bb.602:
	ds_read2_b32 v[12:13], v24 offset1:1
	ds_read2_b32 v[14:15], v24 offset0:2 offset1:3
	ds_read2_b32 v[16:17], v24 offset0:4 offset1:5
	;; [unrolled: 1-line block ×3, first 2 shown]
	v_mbcnt_lo_u32_b32 v21, -1, 0
	s_waitcnt lgkmcnt(3)
	v_add_u32_e32 v30, v13, v12
	s_waitcnt lgkmcnt(2)
	v_add3_u32 v30, v30, v14, v15
	s_waitcnt lgkmcnt(1)
	v_add3_u32 v30, v30, v16, v17
	v_mbcnt_hi_u32_b32 v21, -1, v21
	s_waitcnt lgkmcnt(0)
	v_add3_u32 v30, v30, v28, v29
	v_and_b32_e32 v31, 15, v21
	v_cmp_ne_u32_e32 vcc, 0, v31
	v_mov_b32_dpp v32, v30 row_shr:1 row_mask:0xf bank_mask:0xf
	v_cndmask_b32_e32 v32, 0, v32, vcc
	v_add_u32_e32 v30, v32, v30
	v_cmp_lt_u32_e32 vcc, 1, v31
	s_nop 0
	v_mov_b32_dpp v32, v30 row_shr:2 row_mask:0xf bank_mask:0xf
	v_cndmask_b32_e32 v32, 0, v32, vcc
	v_add_u32_e32 v30, v30, v32
	v_cmp_lt_u32_e32 vcc, 3, v31
	s_nop 0
	;; [unrolled: 5-line block ×3, first 2 shown]
	v_mov_b32_dpp v32, v30 row_shr:8 row_mask:0xf bank_mask:0xf
	v_cndmask_b32_e32 v31, 0, v32, vcc
	v_add_u32_e32 v30, v30, v31
	v_bfe_i32 v32, v21, 4, 1
	v_cmp_lt_u32_e32 vcc, 31, v21
	v_mov_b32_dpp v31, v30 row_bcast:15 row_mask:0xf bank_mask:0xf
	v_and_b32_e32 v31, v32, v31
	v_add_u32_e32 v30, v30, v31
	v_and_b32_e32 v32, 64, v21
	s_nop 0
	v_mov_b32_dpp v31, v30 row_bcast:31 row_mask:0xf bank_mask:0xf
	v_cndmask_b32_e32 v31, 0, v31, vcc
	v_add_u32_e32 v30, v30, v31
	v_add_u32_e32 v31, -1, v21
	v_cmp_lt_i32_e32 vcc, v31, v32
	v_cndmask_b32_e32 v21, v31, v21, vcc
	v_lshlrev_b32_e32 v21, 2, v21
	ds_bpermute_b32 v21, v21, v30
	s_waitcnt lgkmcnt(0)
	v_add_u32_e32 v12, v21, v12
	v_cndmask_b32_e64 v11, v12, v11, s[10:11]
	v_add_u32_e32 v12, v11, v13
	ds_write2_b32 v24, v11, v12 offset1:1
	v_add_u32_e32 v11, v12, v14
	v_add_u32_e32 v12, v11, v15
	ds_write2_b32 v24, v11, v12 offset0:2 offset1:3
	v_add_u32_e32 v11, v12, v16
	v_add_u32_e32 v12, v11, v17
	ds_write2_b32 v24, v11, v12 offset0:4 offset1:5
	;; [unrolled: 3-line block ×3, first 2 shown]
.LBB5_603:
	s_or_b64 exec, exec, s[18:19]
	v_mov_b32_e32 v11, 0
	v_mov_b32_e32 v12, 0
	s_waitcnt lgkmcnt(0)
	s_barrier
	s_and_saveexec_b64 s[18:19], s[24:25]
	s_cbranch_execz .LBB5_605
; %bb.604:
	ds_read_b32 v12, v25
.LBB5_605:
	s_or_b64 exec, exec, s[18:19]
	ds_read_b32 v13, v11 offset:18488
	s_waitcnt lgkmcnt(1)
	v_add_u32_e32 v12, v12, v10
	v_cmp_lt_i32_e32 vcc, v12, v7
	ds_write_b32 v23, v12 offset:2048
	s_waitcnt lgkmcnt(0)
	v_add_u32_e32 v10, v13, v10
	s_barrier
	s_and_saveexec_b64 s[18:19], vcc
	s_cbranch_execz .LBB5_611
; %bb.606:
	v_mov_b32_e32 v13, v10
	s_and_saveexec_b64 s[20:21], s[14:15]
	s_cbranch_execz .LBB5_608
; %bb.607:
	ds_read_b32 v13, v23 offset:2052
.LBB5_608:
	s_or_b64 exec, exec, s[20:21]
	s_waitcnt lgkmcnt(0)
	v_cmp_ge_i32_e32 vcc, v13, v7
	v_mov_b32_e32 v11, 0
	s_and_saveexec_b64 s[20:21], vcc
	s_cbranch_execz .LBB5_610
; %bb.609:
	s_mov_b32 s22, 0x8000
	v_add_u32_e32 v11, 0x200, v18
	v_sub_u32_e32 v12, v13, v12
	v_add_u32_e64 v13, s22, 0
	ds_write2_b32 v13, v12, v11 offset0:69 offset1:71
	v_mov_b32_e32 v11, 1
.LBB5_610:
	s_or_b64 exec, exec, s[20:21]
.LBB5_611:
	s_or_b64 exec, exec, s[18:19]
	v_or_b32_dpp v11, v11, v11 row_shl:1 row_mask:0xf bank_mask:0xf bound_ctrl:1
	s_bitcmp1_b32 exec_hi, 0
	s_nop 0
	v_or_b32_dpp v11, v11, v11 row_shl:2 row_mask:0xf bank_mask:0xf bound_ctrl:1
	s_nop 1
	v_or_b32_dpp v11, v11, v11 row_shl:4 row_mask:0xf bank_mask:0xf bound_ctrl:1
	;; [unrolled: 2-line block ×3, first 2 shown]
	s_nop 1
	v_mov_b32_dpp v12, v11 wave_shl:1 row_mask:0xf bank_mask:0xf bound_ctrl:1
	s_nop 1
	v_or_b32_dpp v11, v12, v11 row_mirror row_mask:0xf bank_mask:0xf bound_ctrl:1
	v_readlane_b32 s18, v11, 32
	s_cselect_b32 s18, s18, 0
	v_readlane_b32 s19, v11, 0
	s_or_b32 s20, s18, s19
	s_and_b64 vcc, exec, s[8:9]
	v_mov_b32_e32 v11, s20
	s_cbranch_vccnz .LBB5_618
; %bb.612:
	v_mbcnt_lo_u32_b32 v11, -1, 0
	v_mbcnt_hi_u32_b32 v11, -1, v11
	v_or_b32_e32 v12, v11, v27
	v_cmp_eq_u32_e32 vcc, 0, v12
	s_and_saveexec_b64 s[18:19], vcc
	s_cbranch_execz .LBB5_614
; %bb.613:
	v_mov_b32_e32 v12, 0
	v_mov_b32_e32 v13, s20
	ds_write_b32 v12, v13 offset:32768
.LBB5_614:
	s_or_b64 exec, exec, s[18:19]
	v_cmp_eq_u32_e32 vcc, 0, v11
	s_and_b64 s[22:23], s[16:17], vcc
	s_waitcnt lgkmcnt(0)
	s_barrier
	s_and_saveexec_b64 s[18:19], s[22:23]
	s_cbranch_execz .LBB5_617
; %bb.615:
	v_mbcnt_lo_u32_b32 v11, exec_lo, 0
	v_mbcnt_hi_u32_b32 v11, exec_hi, v11
	v_cmp_eq_u32_e32 vcc, 0, v11
	s_and_b64 exec, exec, vcc
	s_cbranch_execz .LBB5_617
; %bb.616:
	v_mov_b32_e32 v11, 0
	v_mov_b32_e32 v12, s20
	ds_or_b32 v11, v12 offset:32768
.LBB5_617:
	s_or_b64 exec, exec, s[18:19]
	v_mov_b32_e32 v11, 0
	s_waitcnt lgkmcnt(0)
	s_barrier
	ds_read_b32 v11, v11 offset:32768
	s_waitcnt lgkmcnt(0)
	s_barrier
.LBB5_618:
	v_cmp_ne_u32_e32 vcc, 0, v11
	s_cbranch_vccnz .LBB5_654
; %bb.619:
	ds_read_b32 v11, v23 offset:4096
	s_waitcnt lgkmcnt(0)
	s_barrier
	ds_write_b32 v26, v11
	s_waitcnt lgkmcnt(0)
	s_barrier
	s_and_saveexec_b64 s[18:19], s[12:13]
	s_cbranch_execz .LBB5_621
; %bb.620:
	ds_read2_b32 v[12:13], v24 offset1:1
	ds_read2_b32 v[14:15], v24 offset0:2 offset1:3
	ds_read2_b32 v[16:17], v24 offset0:4 offset1:5
	;; [unrolled: 1-line block ×3, first 2 shown]
	v_mbcnt_lo_u32_b32 v21, -1, 0
	s_waitcnt lgkmcnt(3)
	v_add_u32_e32 v30, v13, v12
	s_waitcnt lgkmcnt(2)
	v_add3_u32 v30, v30, v14, v15
	s_waitcnt lgkmcnt(1)
	v_add3_u32 v30, v30, v16, v17
	v_mbcnt_hi_u32_b32 v21, -1, v21
	s_waitcnt lgkmcnt(0)
	v_add3_u32 v30, v30, v28, v29
	v_and_b32_e32 v31, 15, v21
	v_cmp_ne_u32_e32 vcc, 0, v31
	v_mov_b32_dpp v32, v30 row_shr:1 row_mask:0xf bank_mask:0xf
	v_cndmask_b32_e32 v32, 0, v32, vcc
	v_add_u32_e32 v30, v32, v30
	v_cmp_lt_u32_e32 vcc, 1, v31
	s_nop 0
	v_mov_b32_dpp v32, v30 row_shr:2 row_mask:0xf bank_mask:0xf
	v_cndmask_b32_e32 v32, 0, v32, vcc
	v_add_u32_e32 v30, v30, v32
	v_cmp_lt_u32_e32 vcc, 3, v31
	s_nop 0
	;; [unrolled: 5-line block ×3, first 2 shown]
	v_mov_b32_dpp v32, v30 row_shr:8 row_mask:0xf bank_mask:0xf
	v_cndmask_b32_e32 v31, 0, v32, vcc
	v_add_u32_e32 v30, v30, v31
	v_bfe_i32 v32, v21, 4, 1
	v_cmp_lt_u32_e32 vcc, 31, v21
	v_mov_b32_dpp v31, v30 row_bcast:15 row_mask:0xf bank_mask:0xf
	v_and_b32_e32 v31, v32, v31
	v_add_u32_e32 v30, v30, v31
	v_and_b32_e32 v32, 64, v21
	s_nop 0
	v_mov_b32_dpp v31, v30 row_bcast:31 row_mask:0xf bank_mask:0xf
	v_cndmask_b32_e32 v31, 0, v31, vcc
	v_add_u32_e32 v30, v30, v31
	v_add_u32_e32 v31, -1, v21
	v_cmp_lt_i32_e32 vcc, v31, v32
	v_cndmask_b32_e32 v21, v31, v21, vcc
	v_lshlrev_b32_e32 v21, 2, v21
	ds_bpermute_b32 v21, v21, v30
	s_waitcnt lgkmcnt(0)
	v_add_u32_e32 v12, v21, v12
	v_cndmask_b32_e64 v11, v12, v11, s[10:11]
	v_add_u32_e32 v12, v11, v13
	ds_write2_b32 v24, v11, v12 offset1:1
	v_add_u32_e32 v11, v12, v14
	v_add_u32_e32 v12, v11, v15
	ds_write2_b32 v24, v11, v12 offset0:2 offset1:3
	v_add_u32_e32 v11, v12, v16
	v_add_u32_e32 v12, v11, v17
	ds_write2_b32 v24, v11, v12 offset0:4 offset1:5
	;; [unrolled: 3-line block ×3, first 2 shown]
.LBB5_621:
	s_or_b64 exec, exec, s[18:19]
	v_mov_b32_e32 v11, 0
	v_mov_b32_e32 v12, 0
	s_waitcnt lgkmcnt(0)
	s_barrier
	s_and_saveexec_b64 s[18:19], s[24:25]
	s_cbranch_execz .LBB5_623
; %bb.622:
	ds_read_b32 v12, v25
.LBB5_623:
	s_or_b64 exec, exec, s[18:19]
	ds_read_b32 v13, v11 offset:18488
	s_waitcnt lgkmcnt(1)
	v_add_u32_e32 v12, v12, v10
	v_cmp_lt_i32_e32 vcc, v12, v7
	ds_write_b32 v23, v12 offset:4096
	s_waitcnt lgkmcnt(0)
	v_add_u32_e32 v10, v13, v10
	s_barrier
	s_and_saveexec_b64 s[18:19], vcc
	s_cbranch_execz .LBB5_629
; %bb.624:
	v_mov_b32_e32 v13, v10
	s_and_saveexec_b64 s[20:21], s[14:15]
	s_cbranch_execz .LBB5_626
; %bb.625:
	ds_read_b32 v13, v23 offset:4100
.LBB5_626:
	s_or_b64 exec, exec, s[20:21]
	s_waitcnt lgkmcnt(0)
	v_cmp_ge_i32_e32 vcc, v13, v7
	v_mov_b32_e32 v11, 0
	s_and_saveexec_b64 s[20:21], vcc
	s_cbranch_execz .LBB5_628
; %bb.627:
	s_mov_b32 s22, 0x8000
	v_or_b32_e32 v11, 0x400, v18
	v_sub_u32_e32 v12, v13, v12
	v_add_u32_e64 v13, s22, 0
	ds_write2_b32 v13, v12, v11 offset0:69 offset1:71
	v_mov_b32_e32 v11, 1
.LBB5_628:
	s_or_b64 exec, exec, s[20:21]
.LBB5_629:
	s_or_b64 exec, exec, s[18:19]
	v_or_b32_dpp v11, v11, v11 row_shl:1 row_mask:0xf bank_mask:0xf bound_ctrl:1
	s_bitcmp1_b32 exec_hi, 0
	s_nop 0
	v_or_b32_dpp v11, v11, v11 row_shl:2 row_mask:0xf bank_mask:0xf bound_ctrl:1
	s_nop 1
	v_or_b32_dpp v11, v11, v11 row_shl:4 row_mask:0xf bank_mask:0xf bound_ctrl:1
	;; [unrolled: 2-line block ×3, first 2 shown]
	s_nop 1
	v_mov_b32_dpp v12, v11 wave_shl:1 row_mask:0xf bank_mask:0xf bound_ctrl:1
	s_nop 1
	v_or_b32_dpp v11, v12, v11 row_mirror row_mask:0xf bank_mask:0xf bound_ctrl:1
	v_readlane_b32 s18, v11, 32
	s_cselect_b32 s18, s18, 0
	v_readlane_b32 s19, v11, 0
	s_or_b32 s20, s18, s19
	s_and_b64 vcc, exec, s[8:9]
	v_mov_b32_e32 v11, s20
	s_cbranch_vccnz .LBB5_636
; %bb.630:
	v_mbcnt_lo_u32_b32 v11, -1, 0
	v_mbcnt_hi_u32_b32 v11, -1, v11
	v_or_b32_e32 v12, v11, v27
	v_cmp_eq_u32_e32 vcc, 0, v12
	s_and_saveexec_b64 s[18:19], vcc
	s_cbranch_execz .LBB5_632
; %bb.631:
	v_mov_b32_e32 v12, 0
	v_mov_b32_e32 v13, s20
	ds_write_b32 v12, v13 offset:32768
.LBB5_632:
	s_or_b64 exec, exec, s[18:19]
	v_cmp_eq_u32_e32 vcc, 0, v11
	s_and_b64 s[22:23], s[16:17], vcc
	s_waitcnt lgkmcnt(0)
	s_barrier
	s_and_saveexec_b64 s[18:19], s[22:23]
	s_cbranch_execz .LBB5_635
; %bb.633:
	v_mbcnt_lo_u32_b32 v11, exec_lo, 0
	v_mbcnt_hi_u32_b32 v11, exec_hi, v11
	v_cmp_eq_u32_e32 vcc, 0, v11
	s_and_b64 exec, exec, vcc
	s_cbranch_execz .LBB5_635
; %bb.634:
	v_mov_b32_e32 v11, 0
	v_mov_b32_e32 v12, s20
	ds_or_b32 v11, v12 offset:32768
.LBB5_635:
	s_or_b64 exec, exec, s[18:19]
	v_mov_b32_e32 v11, 0
	s_waitcnt lgkmcnt(0)
	s_barrier
	ds_read_b32 v11, v11 offset:32768
	s_waitcnt lgkmcnt(0)
	s_barrier
.LBB5_636:
	v_cmp_ne_u32_e32 vcc, 0, v11
	s_cbranch_vccnz .LBB5_654
; %bb.637:
	ds_read_b32 v12, v23 offset:6144
	v_mbcnt_lo_u32_b32 v11, -1, 0
	s_waitcnt lgkmcnt(0)
	s_barrier
	ds_write_b32 v26, v12
	s_waitcnt lgkmcnt(0)
	s_barrier
	s_and_saveexec_b64 s[18:19], s[12:13]
	s_cbranch_execz .LBB5_639
; %bb.638:
	ds_read2_b32 v[14:15], v24 offset1:1
	ds_read2_b32 v[16:17], v24 offset0:2 offset1:3
	ds_read2_b32 v[28:29], v24 offset0:4 offset1:5
	;; [unrolled: 1-line block ×3, first 2 shown]
	v_mbcnt_hi_u32_b32 v13, -1, v11
	s_waitcnt lgkmcnt(3)
	v_add_u32_e32 v21, v15, v14
	s_waitcnt lgkmcnt(2)
	v_add3_u32 v21, v21, v16, v17
	s_waitcnt lgkmcnt(1)
	v_add3_u32 v21, v21, v28, v29
	;; [unrolled: 2-line block ×3, first 2 shown]
	v_and_b32_e32 v26, 15, v13
	v_cmp_ne_u32_e32 vcc, 0, v26
	v_mov_b32_dpp v32, v21 row_shr:1 row_mask:0xf bank_mask:0xf
	v_cndmask_b32_e32 v32, 0, v32, vcc
	v_add_u32_e32 v21, v32, v21
	v_cmp_lt_u32_e32 vcc, 1, v26
	s_nop 0
	v_mov_b32_dpp v32, v21 row_shr:2 row_mask:0xf bank_mask:0xf
	v_cndmask_b32_e32 v32, 0, v32, vcc
	v_add_u32_e32 v21, v21, v32
	v_cmp_lt_u32_e32 vcc, 3, v26
	s_nop 0
	;; [unrolled: 5-line block ×3, first 2 shown]
	v_mov_b32_dpp v32, v21 row_shr:8 row_mask:0xf bank_mask:0xf
	v_cndmask_b32_e32 v26, 0, v32, vcc
	v_add_u32_e32 v21, v21, v26
	v_bfe_i32 v32, v13, 4, 1
	v_cmp_lt_u32_e32 vcc, 31, v13
	v_mov_b32_dpp v26, v21 row_bcast:15 row_mask:0xf bank_mask:0xf
	v_and_b32_e32 v26, v32, v26
	v_add_u32_e32 v21, v21, v26
	v_and_b32_e32 v32, 64, v13
	s_nop 0
	v_mov_b32_dpp v26, v21 row_bcast:31 row_mask:0xf bank_mask:0xf
	v_cndmask_b32_e32 v26, 0, v26, vcc
	v_add_u32_e32 v21, v21, v26
	v_add_u32_e32 v26, -1, v13
	v_cmp_lt_i32_e32 vcc, v26, v32
	v_cndmask_b32_e32 v13, v26, v13, vcc
	v_lshlrev_b32_e32 v13, 2, v13
	ds_bpermute_b32 v13, v13, v21
	s_waitcnt lgkmcnt(0)
	v_add_u32_e32 v13, v13, v14
	v_cndmask_b32_e64 v12, v13, v12, s[10:11]
	v_add_u32_e32 v13, v12, v15
	ds_write2_b32 v24, v12, v13 offset1:1
	v_add_u32_e32 v12, v13, v16
	v_add_u32_e32 v13, v12, v17
	ds_write2_b32 v24, v12, v13 offset0:2 offset1:3
	v_add_u32_e32 v12, v13, v28
	v_add_u32_e32 v13, v12, v29
	ds_write2_b32 v24, v12, v13 offset0:4 offset1:5
	;; [unrolled: 3-line block ×3, first 2 shown]
.LBB5_639:
	s_or_b64 exec, exec, s[18:19]
	v_mov_b32_e32 v12, 0
	v_mov_b32_e32 v13, 0
	s_waitcnt lgkmcnt(0)
	s_barrier
	s_and_saveexec_b64 s[10:11], s[24:25]
	s_cbranch_execz .LBB5_641
; %bb.640:
	ds_read_b32 v13, v25
.LBB5_641:
	s_or_b64 exec, exec, s[10:11]
	ds_read_b32 v14, v12 offset:18488
	s_waitcnt lgkmcnt(1)
	v_add_u32_e32 v13, v13, v10
	v_cmp_lt_i32_e32 vcc, v13, v7
	ds_write_b32 v23, v13 offset:6144
	s_waitcnt lgkmcnt(0)
	s_barrier
	s_and_saveexec_b64 s[10:11], vcc
	s_cbranch_execz .LBB5_647
; %bb.642:
	v_add_u32_e32 v10, v14, v10
	s_and_saveexec_b64 s[12:13], s[14:15]
	s_cbranch_execz .LBB5_644
; %bb.643:
	ds_read_b32 v10, v23 offset:6148
.LBB5_644:
	s_or_b64 exec, exec, s[12:13]
	s_waitcnt lgkmcnt(0)
	v_cmp_ge_i32_e32 vcc, v10, v7
	v_mov_b32_e32 v12, 0
	s_and_saveexec_b64 s[12:13], vcc
	s_cbranch_execz .LBB5_646
; %bb.645:
	s_mov_b32 s14, 0x8000
	v_add_u32_e32 v12, 0x600, v18
	v_sub_u32_e32 v10, v10, v13
	v_add_u32_e64 v13, s14, 0
	ds_write2_b32 v13, v10, v12 offset0:69 offset1:71
	v_mov_b32_e32 v12, 1
.LBB5_646:
	s_or_b64 exec, exec, s[12:13]
.LBB5_647:
	s_or_b64 exec, exec, s[10:11]
	v_or_b32_dpp v10, v12, v12 row_shl:1 row_mask:0xf bank_mask:0xf bound_ctrl:1
	s_and_b64 vcc, exec, s[8:9]
	s_nop 0
	v_or_b32_dpp v10, v10, v10 row_shl:2 row_mask:0xf bank_mask:0xf bound_ctrl:1
	s_nop 1
	v_or_b32_dpp v10, v10, v10 row_shl:4 row_mask:0xf bank_mask:0xf bound_ctrl:1
	;; [unrolled: 2-line block ×3, first 2 shown]
	s_nop 1
	v_mov_b32_dpp v12, v10 wave_shl:1 row_mask:0xf bank_mask:0xf bound_ctrl:1
	s_nop 1
	v_or_b32_dpp v10, v12, v10 row_mirror row_mask:0xf bank_mask:0xf bound_ctrl:1
	v_readlane_b32 s10, v10, 32
	v_readlane_b32 s8, v10, 0
	s_cbranch_vccnz .LBB5_654
; %bb.648:
	s_bitcmp1_b32 exec_hi, 0
	v_mbcnt_hi_u32_b32 v10, -1, v11
	s_cselect_b32 s9, s10, 0
	v_or_b32_e32 v11, v10, v27
	s_or_b32 s10, s9, s8
	v_cmp_eq_u32_e32 vcc, 0, v11
	s_and_saveexec_b64 s[8:9], vcc
	s_cbranch_execz .LBB5_650
; %bb.649:
	v_mov_b32_e32 v11, 0
	v_mov_b32_e32 v12, s10
	ds_write_b32 v11, v12 offset:32768
.LBB5_650:
	s_or_b64 exec, exec, s[8:9]
	v_cmp_eq_u32_e32 vcc, 0, v10
	s_and_b64 s[12:13], s[16:17], vcc
	s_waitcnt lgkmcnt(0)
	s_barrier
	s_and_saveexec_b64 s[8:9], s[12:13]
	s_cbranch_execz .LBB5_653
; %bb.651:
	v_mbcnt_lo_u32_b32 v10, exec_lo, 0
	v_mbcnt_hi_u32_b32 v10, exec_hi, v10
	v_cmp_eq_u32_e32 vcc, 0, v10
	s_and_b64 exec, exec, vcc
	s_cbranch_execz .LBB5_653
; %bb.652:
	v_mov_b32_e32 v10, 0
	v_mov_b32_e32 v11, s10
	ds_or_b32 v10, v11 offset:32768
.LBB5_653:
	s_or_b64 exec, exec, s[8:9]
	v_mov_b32_e32 v10, 0
	s_waitcnt lgkmcnt(0)
	s_barrier
	ds_read_b32 v10, v10 offset:32768
	s_waitcnt lgkmcnt(0)
	s_barrier
.LBB5_654:
	v_mov_b32_e32 v10, 0
	s_waitcnt lgkmcnt(0)
	s_barrier
	ds_read_b32 v16, v10 offset:33052
	s_and_saveexec_b64 s[8:9], s[6:7]
	s_xor_b64 s[6:7], exec, s[8:9]
	s_cbranch_execz .LBB5_669
; %bb.655:
	v_cmp_lt_i32_e32 vcc, v9, v8
	s_and_saveexec_b64 s[8:9], vcc
	s_cbranch_execz .LBB5_668
; %bb.656:
	s_ashr_i32 s53, s52, 31
	s_lshl_b64 s[10:11], s[52:53], 2
	s_getpc_b64 s[12:13]
	s_add_u32 s12, s12, llvm.amdgcn.dynlds.offset.table@rel32@lo+4
	s_addc_u32 s13, s13, llvm.amdgcn.dynlds.offset.table@rel32@hi+12
	s_waitcnt lgkmcnt(0)
	v_lshlrev_b32_e32 v3, 2, v16
	s_add_u32 s10, s10, s12
	v_add_u32_e32 v3, 0x4000, v3
	s_addc_u32 s11, s11, s13
	v_mul_lo_u32 v10, v6, v9
	v_lshlrev_b32_e32 v6, 9, v6
	s_mov_b64 s[12:13], 0
	s_movk_i32 s22, 0x400
	v_mov_b32_e32 v12, 0
	s_branch .LBB5_658
.LBB5_657:                              ;   in Loop: Header=BB5_658 Depth=1
	s_or_b64 exec, exec, s[14:15]
	v_add_u32_e32 v9, 0x200, v9
	v_cmp_ge_i32_e32 vcc, v9, v8
	s_or_b64 s[12:13], vcc, s[12:13]
	v_add_u32_e32 v10, v10, v6
	s_andn2_b64 exec, exec, s[12:13]
	s_cbranch_execz .LBB5_668
.LBB5_658:                              ; =>This Inner Loop Header: Depth=1
	v_ashrrev_i32_e32 v11, 31, v10
	v_lshlrev_b64 v[14:15], 2, v[10:11]
	v_add_co_u32_e32 v14, vcc, v0, v14
	v_addc_co_u32_e32 v15, vcc, v1, v15, vcc
	flat_load_dword v11, v[14:15]
	s_waitcnt vmcnt(0) lgkmcnt(0)
	v_not_b32_e32 v13, v11
	v_and_b32_e32 v14, 0x7ffffc00, v13
	v_cmp_gt_i32_e32 vcc, 0, v11
	v_cndmask_b32_e32 v14, v14, v11, vcc
	v_xor_b32_e32 v14, v14, v20
	v_cmp_gt_u32_e32 vcc, s22, v14
	s_and_saveexec_b64 s[14:15], vcc
	s_cbranch_execz .LBB5_657
; %bb.659:                              ;   in Loop: Header=BB5_658 Depth=1
	v_ashrrev_i32_e32 v13, 31, v13
	v_xor_b32_e32 v11, v11, v13
	v_and_b32_e32 v11, 0x3ff, v11
	v_cmp_lt_u32_e32 vcc, v11, v16
	s_and_saveexec_b64 s[16:17], vcc
	s_cbranch_execz .LBB5_663
; %bb.660:                              ;   in Loop: Header=BB5_658 Depth=1
	s_mov_b64 s[20:21], exec
	v_mbcnt_lo_u32_b32 v13, s20, 0
	v_mbcnt_hi_u32_b32 v13, s21, v13
	v_cmp_eq_u32_e32 vcc, 0, v13
                                        ; implicit-def: $vgpr14
	s_and_saveexec_b64 s[18:19], vcc
	s_cbranch_execz .LBB5_662
; %bb.661:                              ;   in Loop: Header=BB5_658 Depth=1
	s_bcnt1_i32_b64 s20, s[20:21]
	v_mov_b32_e32 v14, s20
	ds_add_rtn_u32 v14, v12, v14 offset:33048
.LBB5_662:                              ;   in Loop: Header=BB5_658 Depth=1
	s_or_b64 exec, exec, s[18:19]
	s_load_dword s18, s[10:11], 0x0
	s_waitcnt lgkmcnt(0)
	v_readfirstlane_b32 s19, v14
	v_add_u32_e32 v13, s19, v13
	v_lshl_add_u32 v13, v13, 2, s18
	ds_write_b32 v13, v9
.LBB5_663:                              ;   in Loop: Header=BB5_658 Depth=1
	s_or_b64 exec, exec, s[16:17]
	v_cmp_eq_u32_e32 vcc, v11, v16
	s_and_b64 exec, exec, vcc
	s_cbranch_execz .LBB5_657
; %bb.664:                              ;   in Loop: Header=BB5_658 Depth=1
	s_mov_b64 s[18:19], exec
	v_mbcnt_lo_u32_b32 v11, s18, 0
	v_mbcnt_hi_u32_b32 v11, s19, v11
	v_cmp_eq_u32_e32 vcc, 0, v11
                                        ; implicit-def: $vgpr13
	s_and_saveexec_b64 s[16:17], vcc
	s_cbranch_execz .LBB5_666
; %bb.665:                              ;   in Loop: Header=BB5_658 Depth=1
	s_bcnt1_i32_b64 s18, s[18:19]
	v_mov_b32_e32 v13, s18
	ds_add_rtn_u32 v13, v3, v13 offset:2112
.LBB5_666:                              ;   in Loop: Header=BB5_658 Depth=1
	s_or_b64 exec, exec, s[16:17]
	s_waitcnt lgkmcnt(0)
	v_readfirstlane_b32 s16, v13
	v_add_u32_e32 v11, s16, v11
	v_cmp_lt_i32_e32 vcc, v11, v7
	s_and_b64 exec, exec, vcc
	s_cbranch_execz .LBB5_657
; %bb.667:                              ;   in Loop: Header=BB5_658 Depth=1
	s_load_dword s16, s[10:11], 0x0
	s_waitcnt lgkmcnt(0)
	v_lshl_add_u32 v11, v11, 2, s16
	ds_write_b32 v11, v9
	s_branch .LBB5_657
.LBB5_668:
	s_or_b64 exec, exec, s[8:9]
                                        ; implicit-def: $vgpr22
                                        ; implicit-def: $vgpr20
                                        ; implicit-def: $vgpr16
                                        ; implicit-def: $vgpr0
                                        ; implicit-def: $vgpr1
.LBB5_669:
	s_andn2_saveexec_b64 s[8:9], s[6:7]
	s_cbranch_execz .LBB5_736
; %bb.670:
	v_lshlrev_b64 v[8:9], 2, v[2:3]
	v_add_co_u32_e32 v3, vcc, v0, v8
	v_and_b32_e32 v14, 15, v3
	v_mov_b32_e32 v15, 0
	v_addc_co_u32_e32 v6, vcc, v1, v9, vcc
	v_sub_u32_e32 v10, 16, v14
	v_lshrrev_b32_e32 v10, 2, v10
	v_cmp_ne_u64_e32 vcc, 0, v[14:15]
	v_cndmask_b32_e32 v10, 0, v10, vcc
	v_min_i32_e32 v12, v10, v22
	v_sub_u32_e32 v10, v22, v12
	v_ashrrev_i32_e32 v11, 31, v10
	v_lshrrev_b32_e32 v11, 30, v11
	v_add_u32_e32 v10, v10, v11
	v_ashrrev_i32_e32 v14, 2, v10
	s_mov_b64 s[10:11], 0
	v_ashrrev_i32_e32 v13, 31, v12
	v_cmp_gt_i32_e32 vcc, v14, v18
	s_and_saveexec_b64 s[12:13], vcc
	s_cbranch_execz .LBB5_713
; %bb.671:
	s_waitcnt lgkmcnt(0)
	v_lshlrev_b32_e32 v10, 2, v16
	v_add_u32_e32 v17, 0x4000, v10
	v_lshlrev_b32_e32 v23, 4, v18
	v_lshlrev_b64 v[10:11], 2, v[12:13]
	v_add_co_u32_e32 v10, vcc, v23, v10
	s_ashr_i32 s53, s52, 31
	v_addc_co_u32_e32 v11, vcc, 0, v11, vcc
	s_lshl_b64 s[6:7], s[52:53], 2
	v_add_co_u32_e32 v8, vcc, v10, v8
	s_getpc_b64 s[14:15]
	s_add_u32 s14, s14, llvm.amdgcn.dynlds.offset.table@rel32@lo+4
	s_addc_u32 s15, s15, llvm.amdgcn.dynlds.offset.table@rel32@hi+12
	v_addc_co_u32_e32 v9, vcc, v11, v9, vcc
	s_add_u32 s14, s6, s14
	v_add_co_u32_e32 v0, vcc, v0, v8
	s_addc_u32 s15, s7, s15
	v_lshl_add_u32 v21, v18, 2, v12
	v_addc_co_u32_e32 v1, vcc, v1, v9, vcc
	s_movk_i32 s22, 0x400
	v_mov_b32_e32 v13, v18
	s_branch .LBB5_673
.LBB5_672:                              ;   in Loop: Header=BB5_673 Depth=1
	s_or_b64 exec, exec, s[6:7]
	v_add_u32_e32 v13, 0x200, v13
	v_add_co_u32_e32 v0, vcc, 0x2000, v0
	v_cmp_ge_i32_e64 s[6:7], v13, v14
	v_add_u32_e32 v21, 0x800, v21
	s_or_b64 s[10:11], s[6:7], s[10:11]
	v_addc_co_u32_e32 v1, vcc, 0, v1, vcc
	s_andn2_b64 exec, exec, s[10:11]
	s_cbranch_execz .LBB5_713
.LBB5_673:                              ; =>This Inner Loop Header: Depth=1
	flat_load_dwordx4 v[8:11], v[0:1]
	s_waitcnt vmcnt(0) lgkmcnt(0)
	v_not_b32_e32 v23, v8
	v_and_b32_e32 v24, 0x7ffffc00, v23
	v_cmp_gt_i32_e32 vcc, 0, v8
	v_cndmask_b32_e32 v24, v24, v8, vcc
	v_xor_b32_e32 v24, v24, v20
	v_cmp_gt_u32_e32 vcc, s22, v24
	s_and_saveexec_b64 s[6:7], vcc
	s_cbranch_execz .LBB5_683
; %bb.674:                              ;   in Loop: Header=BB5_673 Depth=1
	v_ashrrev_i32_e32 v23, 31, v23
	v_xor_b32_e32 v8, v8, v23
	v_and_b32_e32 v8, 0x3ff, v8
	v_cmp_lt_u32_e32 vcc, v8, v16
	s_and_saveexec_b64 s[16:17], vcc
	s_cbranch_execz .LBB5_678
; %bb.675:                              ;   in Loop: Header=BB5_673 Depth=1
	s_mov_b64 s[20:21], exec
	v_mbcnt_lo_u32_b32 v23, s20, 0
	v_mbcnt_hi_u32_b32 v23, s21, v23
	v_cmp_eq_u32_e32 vcc, 0, v23
                                        ; implicit-def: $vgpr24
	s_and_saveexec_b64 s[18:19], vcc
	s_cbranch_execz .LBB5_677
; %bb.676:                              ;   in Loop: Header=BB5_673 Depth=1
	s_bcnt1_i32_b64 s20, s[20:21]
	v_mov_b32_e32 v24, s20
	ds_add_rtn_u32 v24, v15, v24 offset:33048
.LBB5_677:                              ;   in Loop: Header=BB5_673 Depth=1
	s_or_b64 exec, exec, s[18:19]
	s_load_dword s18, s[14:15], 0x0
	s_waitcnt lgkmcnt(0)
	v_readfirstlane_b32 s19, v24
	v_add_u32_e32 v23, s19, v23
	v_lshl_add_u32 v23, v23, 2, s18
	ds_write_b32 v23, v21
.LBB5_678:                              ;   in Loop: Header=BB5_673 Depth=1
	s_or_b64 exec, exec, s[16:17]
	v_cmp_eq_u32_e32 vcc, v8, v16
	s_and_b64 exec, exec, vcc
	s_cbranch_execz .LBB5_683
; %bb.679:                              ;   in Loop: Header=BB5_673 Depth=1
	s_mov_b64 s[18:19], exec
	v_mbcnt_lo_u32_b32 v8, s18, 0
	v_mbcnt_hi_u32_b32 v8, s19, v8
	v_cmp_eq_u32_e32 vcc, 0, v8
                                        ; implicit-def: $vgpr23
	s_and_saveexec_b64 s[16:17], vcc
	s_cbranch_execz .LBB5_681
; %bb.680:                              ;   in Loop: Header=BB5_673 Depth=1
	s_bcnt1_i32_b64 s18, s[18:19]
	v_mov_b32_e32 v23, s18
	ds_add_rtn_u32 v23, v17, v23 offset:2112
.LBB5_681:                              ;   in Loop: Header=BB5_673 Depth=1
	s_or_b64 exec, exec, s[16:17]
	s_waitcnt lgkmcnt(0)
	v_readfirstlane_b32 s16, v23
	v_add_u32_e32 v8, s16, v8
	v_cmp_lt_i32_e32 vcc, v8, v7
	s_and_b64 exec, exec, vcc
	s_cbranch_execz .LBB5_683
; %bb.682:                              ;   in Loop: Header=BB5_673 Depth=1
	s_load_dword s16, s[14:15], 0x0
	s_waitcnt lgkmcnt(0)
	v_lshl_add_u32 v8, v8, 2, s16
	ds_write_b32 v8, v21
.LBB5_683:                              ;   in Loop: Header=BB5_673 Depth=1
	s_or_b64 exec, exec, s[6:7]
	v_not_b32_e32 v23, v9
	v_and_b32_e32 v8, 0x7ffffc00, v23
	v_cmp_gt_i32_e32 vcc, 0, v9
	v_cndmask_b32_e32 v8, v8, v9, vcc
	v_xor_b32_e32 v8, v8, v20
	v_cmp_gt_u32_e32 vcc, s22, v8
	s_and_saveexec_b64 s[6:7], vcc
	s_cbranch_execz .LBB5_693
; %bb.684:                              ;   in Loop: Header=BB5_673 Depth=1
	v_ashrrev_i32_e32 v23, 31, v23
	v_xor_b32_e32 v9, v9, v23
	v_and_b32_e32 v9, 0x3ff, v9
	v_add_u32_e32 v8, 1, v21
	v_cmp_lt_u32_e32 vcc, v9, v16
	s_and_saveexec_b64 s[16:17], vcc
	s_cbranch_execz .LBB5_688
; %bb.685:                              ;   in Loop: Header=BB5_673 Depth=1
	s_mov_b64 s[20:21], exec
	v_mbcnt_lo_u32_b32 v23, s20, 0
	v_mbcnt_hi_u32_b32 v23, s21, v23
	v_cmp_eq_u32_e32 vcc, 0, v23
                                        ; implicit-def: $vgpr24
	s_and_saveexec_b64 s[18:19], vcc
	s_cbranch_execz .LBB5_687
; %bb.686:                              ;   in Loop: Header=BB5_673 Depth=1
	s_bcnt1_i32_b64 s20, s[20:21]
	v_mov_b32_e32 v24, s20
	ds_add_rtn_u32 v24, v15, v24 offset:33048
.LBB5_687:                              ;   in Loop: Header=BB5_673 Depth=1
	s_or_b64 exec, exec, s[18:19]
	s_load_dword s18, s[14:15], 0x0
	s_waitcnt lgkmcnt(0)
	v_readfirstlane_b32 s19, v24
	v_add_u32_e32 v23, s19, v23
	v_lshl_add_u32 v23, v23, 2, s18
	ds_write_b32 v23, v8
.LBB5_688:                              ;   in Loop: Header=BB5_673 Depth=1
	s_or_b64 exec, exec, s[16:17]
	v_cmp_eq_u32_e32 vcc, v9, v16
	s_and_b64 exec, exec, vcc
	s_cbranch_execz .LBB5_693
; %bb.689:                              ;   in Loop: Header=BB5_673 Depth=1
	s_mov_b64 s[18:19], exec
	v_mbcnt_lo_u32_b32 v9, s18, 0
	v_mbcnt_hi_u32_b32 v9, s19, v9
	v_cmp_eq_u32_e32 vcc, 0, v9
                                        ; implicit-def: $vgpr23
	s_and_saveexec_b64 s[16:17], vcc
	s_cbranch_execz .LBB5_691
; %bb.690:                              ;   in Loop: Header=BB5_673 Depth=1
	s_bcnt1_i32_b64 s18, s[18:19]
	v_mov_b32_e32 v23, s18
	ds_add_rtn_u32 v23, v17, v23 offset:2112
.LBB5_691:                              ;   in Loop: Header=BB5_673 Depth=1
	s_or_b64 exec, exec, s[16:17]
	s_waitcnt lgkmcnt(0)
	v_readfirstlane_b32 s16, v23
	v_add_u32_e32 v9, s16, v9
	v_cmp_lt_i32_e32 vcc, v9, v7
	s_and_b64 exec, exec, vcc
	s_cbranch_execz .LBB5_693
; %bb.692:                              ;   in Loop: Header=BB5_673 Depth=1
	s_load_dword s16, s[14:15], 0x0
	s_waitcnt lgkmcnt(0)
	v_lshl_add_u32 v9, v9, 2, s16
	ds_write_b32 v9, v8
.LBB5_693:                              ;   in Loop: Header=BB5_673 Depth=1
	s_or_b64 exec, exec, s[6:7]
	v_not_b32_e32 v9, v10
	v_and_b32_e32 v8, 0x7ffffc00, v9
	v_cmp_gt_i32_e32 vcc, 0, v10
	v_cndmask_b32_e32 v8, v8, v10, vcc
	v_xor_b32_e32 v8, v8, v20
	v_cmp_gt_u32_e32 vcc, s22, v8
	s_and_saveexec_b64 s[6:7], vcc
	s_cbranch_execz .LBB5_703
; %bb.694:                              ;   in Loop: Header=BB5_673 Depth=1
	v_ashrrev_i32_e32 v9, 31, v9
	v_xor_b32_e32 v9, v10, v9
	v_and_b32_e32 v9, 0x3ff, v9
	v_add_u32_e32 v8, 2, v21
	v_cmp_lt_u32_e32 vcc, v9, v16
	s_and_saveexec_b64 s[16:17], vcc
	s_cbranch_execz .LBB5_698
; %bb.695:                              ;   in Loop: Header=BB5_673 Depth=1
	s_mov_b64 s[20:21], exec
	v_mbcnt_lo_u32_b32 v10, s20, 0
	v_mbcnt_hi_u32_b32 v10, s21, v10
	v_cmp_eq_u32_e32 vcc, 0, v10
                                        ; implicit-def: $vgpr23
	s_and_saveexec_b64 s[18:19], vcc
	s_cbranch_execz .LBB5_697
; %bb.696:                              ;   in Loop: Header=BB5_673 Depth=1
	s_bcnt1_i32_b64 s20, s[20:21]
	v_mov_b32_e32 v23, s20
	ds_add_rtn_u32 v23, v15, v23 offset:33048
.LBB5_697:                              ;   in Loop: Header=BB5_673 Depth=1
	s_or_b64 exec, exec, s[18:19]
	s_load_dword s18, s[14:15], 0x0
	s_waitcnt lgkmcnt(0)
	v_readfirstlane_b32 s19, v23
	v_add_u32_e32 v10, s19, v10
	v_lshl_add_u32 v10, v10, 2, s18
	ds_write_b32 v10, v8
.LBB5_698:                              ;   in Loop: Header=BB5_673 Depth=1
	s_or_b64 exec, exec, s[16:17]
	v_cmp_eq_u32_e32 vcc, v9, v16
	s_and_b64 exec, exec, vcc
	s_cbranch_execz .LBB5_703
; %bb.699:                              ;   in Loop: Header=BB5_673 Depth=1
	s_mov_b64 s[18:19], exec
	v_mbcnt_lo_u32_b32 v9, s18, 0
	v_mbcnt_hi_u32_b32 v9, s19, v9
	v_cmp_eq_u32_e32 vcc, 0, v9
                                        ; implicit-def: $vgpr10
	s_and_saveexec_b64 s[16:17], vcc
	s_cbranch_execz .LBB5_701
; %bb.700:                              ;   in Loop: Header=BB5_673 Depth=1
	s_bcnt1_i32_b64 s18, s[18:19]
	v_mov_b32_e32 v10, s18
	ds_add_rtn_u32 v10, v17, v10 offset:2112
.LBB5_701:                              ;   in Loop: Header=BB5_673 Depth=1
	s_or_b64 exec, exec, s[16:17]
	s_waitcnt lgkmcnt(0)
	v_readfirstlane_b32 s16, v10
	v_add_u32_e32 v9, s16, v9
	v_cmp_lt_i32_e32 vcc, v9, v7
	s_and_b64 exec, exec, vcc
	s_cbranch_execz .LBB5_703
; %bb.702:                              ;   in Loop: Header=BB5_673 Depth=1
	s_load_dword s16, s[14:15], 0x0
	s_waitcnt lgkmcnt(0)
	v_lshl_add_u32 v9, v9, 2, s16
	ds_write_b32 v9, v8
.LBB5_703:                              ;   in Loop: Header=BB5_673 Depth=1
	s_or_b64 exec, exec, s[6:7]
	v_not_b32_e32 v9, v11
	v_and_b32_e32 v8, 0x7ffffc00, v9
	v_cmp_gt_i32_e32 vcc, 0, v11
	v_cndmask_b32_e32 v8, v8, v11, vcc
	v_xor_b32_e32 v8, v8, v20
	v_cmp_gt_u32_e32 vcc, s22, v8
	s_and_saveexec_b64 s[6:7], vcc
	s_cbranch_execz .LBB5_672
; %bb.704:                              ;   in Loop: Header=BB5_673 Depth=1
	v_ashrrev_i32_e32 v9, 31, v9
	v_xor_b32_e32 v9, v11, v9
	v_and_b32_e32 v9, 0x3ff, v9
	v_add_u32_e32 v8, 3, v21
	v_cmp_lt_u32_e32 vcc, v9, v16
	s_and_saveexec_b64 s[16:17], vcc
	s_cbranch_execz .LBB5_708
; %bb.705:                              ;   in Loop: Header=BB5_673 Depth=1
	s_mov_b64 s[20:21], exec
	v_mbcnt_lo_u32_b32 v10, s20, 0
	v_mbcnt_hi_u32_b32 v10, s21, v10
	v_cmp_eq_u32_e32 vcc, 0, v10
                                        ; implicit-def: $vgpr11
	s_and_saveexec_b64 s[18:19], vcc
	s_cbranch_execz .LBB5_707
; %bb.706:                              ;   in Loop: Header=BB5_673 Depth=1
	s_bcnt1_i32_b64 s20, s[20:21]
	v_mov_b32_e32 v11, s20
	ds_add_rtn_u32 v11, v15, v11 offset:33048
.LBB5_707:                              ;   in Loop: Header=BB5_673 Depth=1
	s_or_b64 exec, exec, s[18:19]
	s_load_dword s18, s[14:15], 0x0
	s_waitcnt lgkmcnt(0)
	v_readfirstlane_b32 s19, v11
	v_add_u32_e32 v10, s19, v10
	v_lshl_add_u32 v10, v10, 2, s18
	ds_write_b32 v10, v8
.LBB5_708:                              ;   in Loop: Header=BB5_673 Depth=1
	s_or_b64 exec, exec, s[16:17]
	v_cmp_eq_u32_e32 vcc, v9, v16
	s_and_b64 exec, exec, vcc
	s_cbranch_execz .LBB5_672
; %bb.709:                              ;   in Loop: Header=BB5_673 Depth=1
	s_mov_b64 s[18:19], exec
	v_mbcnt_lo_u32_b32 v9, s18, 0
	v_mbcnt_hi_u32_b32 v9, s19, v9
	v_cmp_eq_u32_e32 vcc, 0, v9
                                        ; implicit-def: $vgpr10
	s_and_saveexec_b64 s[16:17], vcc
	s_cbranch_execz .LBB5_711
; %bb.710:                              ;   in Loop: Header=BB5_673 Depth=1
	s_bcnt1_i32_b64 s18, s[18:19]
	v_mov_b32_e32 v10, s18
	ds_add_rtn_u32 v10, v17, v10 offset:2112
.LBB5_711:                              ;   in Loop: Header=BB5_673 Depth=1
	s_or_b64 exec, exec, s[16:17]
	s_waitcnt lgkmcnt(0)
	v_readfirstlane_b32 s16, v10
	v_add_u32_e32 v9, s16, v9
	v_cmp_lt_i32_e32 vcc, v9, v7
	s_and_b64 exec, exec, vcc
	s_cbranch_execz .LBB5_672
; %bb.712:                              ;   in Loop: Header=BB5_673 Depth=1
	s_load_dword s16, s[14:15], 0x0
	s_waitcnt lgkmcnt(0)
	v_lshl_add_u32 v9, v9, 2, s16
	ds_write_b32 v9, v8
	s_branch .LBB5_672
.LBB5_713:
	s_or_b64 exec, exec, s[12:13]
	v_cmp_gt_u32_e32 vcc, v12, v18
	s_and_saveexec_b64 s[6:7], vcc
	s_cbranch_execz .LBB5_724
; %bb.714:
	v_add_co_u32_e32 v0, vcc, v3, v19
	v_addc_co_u32_e32 v1, vcc, 0, v6, vcc
	flat_load_dword v0, v[0:1]
	s_movk_i32 s10, 0x400
	s_waitcnt vmcnt(0) lgkmcnt(0)
	v_not_b32_e32 v1, v0
	v_and_b32_e32 v8, 0x7ffffc00, v1
	v_cmp_gt_i32_e32 vcc, 0, v0
	v_cndmask_b32_e32 v8, v8, v0, vcc
	v_xor_b32_e32 v8, v8, v20
	v_cmp_gt_u32_e32 vcc, s10, v8
	s_and_b64 exec, exec, vcc
	s_cbranch_execz .LBB5_724
; %bb.715:
	v_ashrrev_i32_e32 v1, 31, v1
	v_xor_b32_e32 v0, v0, v1
	v_and_b32_e32 v0, 0x3ff, v0
	v_cmp_lt_u32_e32 vcc, v0, v16
	s_and_saveexec_b64 s[10:11], vcc
	s_cbranch_execz .LBB5_719
; %bb.716:
	s_mov_b64 s[14:15], exec
	v_mbcnt_lo_u32_b32 v1, s14, 0
	v_mbcnt_hi_u32_b32 v1, s15, v1
	v_cmp_eq_u32_e32 vcc, 0, v1
                                        ; implicit-def: $vgpr8
	s_and_saveexec_b64 s[12:13], vcc
	s_cbranch_execz .LBB5_718
; %bb.717:
	s_bcnt1_i32_b64 s14, s[14:15]
	v_mov_b32_e32 v8, 0
	v_mov_b32_e32 v9, s14
	ds_add_rtn_u32 v8, v8, v9 offset:33048
.LBB5_718:
	s_or_b64 exec, exec, s[12:13]
	s_ashr_i32 s53, s52, 31
	s_lshl_b64 s[12:13], s[52:53], 2
	s_getpc_b64 s[14:15]
	s_add_u32 s14, s14, llvm.amdgcn.dynlds.offset.table@rel32@lo+4
	s_addc_u32 s15, s15, llvm.amdgcn.dynlds.offset.table@rel32@hi+12
	s_add_u32 s12, s12, s14
	s_addc_u32 s13, s13, s15
	s_load_dword s12, s[12:13], 0x0
	s_waitcnt lgkmcnt(0)
	v_readfirstlane_b32 s13, v8
	v_add_u32_e32 v1, s13, v1
	v_lshl_add_u32 v1, v1, 2, s12
	ds_write_b32 v1, v18
.LBB5_719:
	s_or_b64 exec, exec, s[10:11]
	v_cmp_eq_u32_e32 vcc, v0, v16
	s_and_b64 exec, exec, vcc
	s_cbranch_execz .LBB5_724
; %bb.720:
	s_mov_b64 s[12:13], exec
	v_mbcnt_lo_u32_b32 v0, s12, 0
	v_mbcnt_hi_u32_b32 v0, s13, v0
	v_cmp_eq_u32_e32 vcc, 0, v0
                                        ; implicit-def: $vgpr1
	s_and_saveexec_b64 s[10:11], vcc
	s_cbranch_execz .LBB5_722
; %bb.721:
	s_bcnt1_i32_b64 s12, s[12:13]
	v_lshlrev_b32_e32 v1, 2, v16
	v_mov_b32_e32 v8, s12
	ds_add_rtn_u32 v1, v1, v8 offset:18496
.LBB5_722:
	s_or_b64 exec, exec, s[10:11]
	s_waitcnt lgkmcnt(0)
	v_readfirstlane_b32 s10, v1
	v_add_u32_e32 v0, s10, v0
	v_cmp_lt_i32_e32 vcc, v0, v7
	s_and_b64 exec, exec, vcc
	s_cbranch_execz .LBB5_724
; %bb.723:
	s_ashr_i32 s53, s52, 31
	s_lshl_b64 s[10:11], s[52:53], 2
	s_getpc_b64 s[12:13]
	s_add_u32 s12, s12, llvm.amdgcn.dynlds.offset.table@rel32@lo+4
	s_addc_u32 s13, s13, llvm.amdgcn.dynlds.offset.table@rel32@hi+12
	s_add_u32 s10, s10, s12
	s_addc_u32 s11, s11, s13
	s_load_dword s10, s[10:11], 0x0
	s_waitcnt lgkmcnt(0)
	v_lshl_add_u32 v0, v0, 2, s10
	ds_write_b32 v0, v18
.LBB5_724:
	s_or_b64 exec, exec, s[6:7]
	v_lshlrev_b32_e32 v0, 2, v14
	v_add3_u32 v0, v12, v18, v0
	v_cmp_lt_i32_e32 vcc, v0, v22
	s_and_saveexec_b64 s[6:7], vcc
	s_cbranch_execz .LBB5_735
; %bb.725:
	v_ashrrev_i32_e32 v1, 31, v0
	v_lshlrev_b64 v[8:9], 2, v[0:1]
	v_add_co_u32_e32 v8, vcc, v3, v8
	v_addc_co_u32_e32 v9, vcc, v6, v9, vcc
	flat_load_dword v1, v[8:9]
	s_movk_i32 s10, 0x400
	s_waitcnt vmcnt(0) lgkmcnt(0)
	v_not_b32_e32 v3, v1
	v_and_b32_e32 v6, 0x7ffffc00, v3
	v_cmp_gt_i32_e32 vcc, 0, v1
	v_cndmask_b32_e32 v6, v6, v1, vcc
	v_xor_b32_e32 v6, v6, v20
	v_cmp_gt_u32_e32 vcc, s10, v6
	s_and_b64 exec, exec, vcc
	s_cbranch_execz .LBB5_735
; %bb.726:
	v_ashrrev_i32_e32 v3, 31, v3
	v_xor_b32_e32 v1, v1, v3
	v_and_b32_e32 v1, 0x3ff, v1
	v_cmp_lt_u32_e32 vcc, v1, v16
	s_and_saveexec_b64 s[10:11], vcc
	s_cbranch_execz .LBB5_730
; %bb.727:
	s_mov_b64 s[14:15], exec
	v_mbcnt_lo_u32_b32 v3, s14, 0
	v_mbcnt_hi_u32_b32 v3, s15, v3
	v_cmp_eq_u32_e32 vcc, 0, v3
                                        ; implicit-def: $vgpr6
	s_and_saveexec_b64 s[12:13], vcc
	s_cbranch_execz .LBB5_729
; %bb.728:
	s_bcnt1_i32_b64 s14, s[14:15]
	v_mov_b32_e32 v6, 0
	v_mov_b32_e32 v8, s14
	ds_add_rtn_u32 v6, v6, v8 offset:33048
.LBB5_729:
	s_or_b64 exec, exec, s[12:13]
	s_ashr_i32 s53, s52, 31
	s_lshl_b64 s[12:13], s[52:53], 2
	s_getpc_b64 s[14:15]
	s_add_u32 s14, s14, llvm.amdgcn.dynlds.offset.table@rel32@lo+4
	s_addc_u32 s15, s15, llvm.amdgcn.dynlds.offset.table@rel32@hi+12
	s_add_u32 s12, s12, s14
	s_addc_u32 s13, s13, s15
	s_load_dword s12, s[12:13], 0x0
	s_waitcnt lgkmcnt(0)
	v_readfirstlane_b32 s13, v6
	v_add_u32_e32 v3, s13, v3
	v_lshl_add_u32 v3, v3, 2, s12
	ds_write_b32 v3, v0
.LBB5_730:
	s_or_b64 exec, exec, s[10:11]
	v_cmp_eq_u32_e32 vcc, v1, v16
	s_and_b64 exec, exec, vcc
	s_cbranch_execz .LBB5_735
; %bb.731:
	s_mov_b64 s[12:13], exec
	v_mbcnt_lo_u32_b32 v1, s12, 0
	v_mbcnt_hi_u32_b32 v1, s13, v1
	v_cmp_eq_u32_e32 vcc, 0, v1
                                        ; implicit-def: $vgpr3
	s_and_saveexec_b64 s[10:11], vcc
	s_cbranch_execz .LBB5_733
; %bb.732:
	s_bcnt1_i32_b64 s12, s[12:13]
	v_lshlrev_b32_e32 v3, 2, v16
	v_mov_b32_e32 v6, s12
	ds_add_rtn_u32 v3, v3, v6 offset:18496
.LBB5_733:
	s_or_b64 exec, exec, s[10:11]
	s_waitcnt lgkmcnt(0)
	v_readfirstlane_b32 s10, v3
	v_add_u32_e32 v1, s10, v1
	v_cmp_lt_i32_e32 vcc, v1, v7
	s_and_b64 exec, exec, vcc
	s_cbranch_execz .LBB5_735
; %bb.734:
	s_ashr_i32 s53, s52, 31
	s_lshl_b64 s[10:11], s[52:53], 2
	s_getpc_b64 s[12:13]
	s_add_u32 s12, s12, llvm.amdgcn.dynlds.offset.table@rel32@lo+4
	s_addc_u32 s13, s13, llvm.amdgcn.dynlds.offset.table@rel32@hi+12
	s_add_u32 s10, s10, s12
	s_addc_u32 s11, s11, s13
	s_load_dword s10, s[10:11], 0x0
	s_waitcnt lgkmcnt(0)
	v_lshl_add_u32 v1, v1, 2, s10
	ds_write_b32 v1, v0
.LBB5_735:
	s_or_b64 exec, exec, s[6:7]
.LBB5_736:
	s_or_b64 exec, exec, s[8:9]
	s_waitcnt lgkmcnt(0)
	s_barrier
	v_cmp_lt_i32_e32 vcc, v18, v7
	s_and_saveexec_b64 s[6:7], vcc
	s_cbranch_execz .LBB5_739
.LBB5_737:
	s_ashr_i32 s53, s52, 31
	v_cndmask_b32_e64 v2, v2, 0, s[4:5]
	s_lshl_b64 s[4:5], s[52:53], 2
	s_getpc_b64 s[8:9]
	s_add_u32 s8, s8, llvm.amdgcn.dynlds.offset.table@rel32@lo+4
	s_addc_u32 s9, s9, llvm.amdgcn.dynlds.offset.table@rel32@hi+12
	s_add_u32 s4, s4, s8
	s_addc_u32 s5, s5, s9
	s_load_dword s4, s[4:5], 0x0
	v_add_co_u32_e32 v0, vcc, v4, v19
	v_addc_co_u32_e32 v1, vcc, 0, v5, vcc
	s_waitcnt lgkmcnt(0)
	v_add_u32_e32 v3, s4, v19
	s_mov_b64 s[4:5], 0
.LBB5_738:                              ; =>This Inner Loop Header: Depth=1
	ds_read_b32 v4, v3
	v_add_u32_e32 v18, 0x200, v18
	v_cmp_ge_i32_e32 vcc, v18, v7
	s_or_b64 s[4:5], vcc, s[4:5]
	v_add_u32_e32 v3, 0x800, v3
	s_waitcnt lgkmcnt(0)
	v_sub_u32_e32 v4, v4, v2
	flat_store_dword v[0:1], v4
	v_add_co_u32_e32 v0, vcc, 0x800, v0
	v_addc_co_u32_e32 v1, vcc, 0, v1, vcc
	s_andn2_b64 exec, exec, s[4:5]
	s_cbranch_execnz .LBB5_738
.LBB5_739:
	s_or_b64 exec, exec, s[6:7]
.LBB5_740:
	s_or_b64 exec, exec, s[54:55]
	v_readlane_b32 s30, v40, 25
	v_readlane_b32 s31, v40, 26
	;; [unrolled: 1-line block ×27, first 2 shown]
	s_or_saveexec_b64 s[4:5], -1
	buffer_load_dword v40, off, s[0:3], s32 ; 4-byte Folded Reload
	s_mov_b64 exec, s[4:5]
	s_waitcnt vmcnt(0) lgkmcnt(0)
	s_setpc_b64 s[30:31]
.Lfunc_end5:
	.size	_ZN4vllmL13topKPerRowJobILi512ELi2048ELb1ELb0ELb0EEEvPKiPKfiiPiPfii, .Lfunc_end5-_ZN4vllmL13topKPerRowJobILi512ELi2048ELb1ELb0ELb0EEEvPKiPKfiiPiPfii
                                        ; -- End function
	.section	.AMDGPU.csdata,"",@progbits
; Function info:
; codeLenInByte = 32800
; NumSgprs: 63
; NumVgprs: 82
; NumAgprs: 0
; TotalNumVgprs: 82
; ScratchSize: 8
; MemoryBound: 0
	.section	.text._ZN4vllmL16topKPerRowDecodeILi512ELb1ELb0ELb0EEEvPKfPKiPiiiiiiPfiS4_,"axG",@progbits,_ZN4vllmL16topKPerRowDecodeILi512ELb1ELb0ELb0EEEvPKfPKiPiiiiiiPfiS4_,comdat
	.globl	_ZN4vllmL16topKPerRowDecodeILi512ELb1ELb0ELb0EEEvPKfPKiPiiiiiiPfiS4_ ; -- Begin function _ZN4vllmL16topKPerRowDecodeILi512ELb1ELb0ELb0EEEvPKfPKiPiiiiiiPfiS4_
	.p2align	8
	.type	_ZN4vllmL16topKPerRowDecodeILi512ELb1ELb0ELb0EEEvPKfPKiPiiiiiiPfiS4_,@function
_ZN4vllmL16topKPerRowDecodeILi512ELb1ELb0ELb0EEEvPKfPKiPiiiiiiPfiS4_: ; @_ZN4vllmL16topKPerRowDecodeILi512ELb1ELb0ELb0EEEvPKfPKiPiiiiiiPfiS4_
; %bb.0:
	s_mov_b32 s12, s8
	s_load_dwordx4 s[16:19], s[4:5], 0x18
	s_load_dword s8, s[4:5], 0x28
	s_add_u32 flat_scratch_lo, s6, s11
	s_addc_u32 flat_scratch_hi, s7, 0
	s_add_u32 s0, s0, s11
	s_addc_u32 s1, s1, 0
	s_mov_b32 s13, s9
	s_waitcnt lgkmcnt(0)
	s_abs_i32 s9, s19
	v_cvt_f32_u32_e32 v1, s9
	s_sub_i32 s15, 0, s9
	s_abs_i32 s11, s12
	s_xor_b32 s14, s12, s19
	v_rcp_iflag_f32_e32 v1, v1
	s_ashr_i32 s14, s14, 31
	s_load_dwordx4 s[20:23], s[4:5], 0x0
	s_load_dwordx2 s[6:7], s[4:5], 0x10
	s_mov_b32 s32, 0
	v_mul_f32_e32 v1, 0x4f7ffffe, v1
	v_cvt_u32_f32_e32 v1, v1
	v_readfirstlane_b32 s24, v1
	s_mul_i32 s15, s15, s24
	s_mul_hi_u32 s15, s24, s15
	s_add_i32 s24, s24, s15
	s_mul_hi_u32 s15, s11, s24
	s_mul_i32 s24, s15, s9
	s_sub_i32 s11, s11, s24
	s_add_i32 s25, s15, 1
	s_sub_i32 s24, s11, s9
	s_cmp_ge_u32 s11, s9
	s_cselect_b32 s15, s25, s15
	s_cselect_b32 s11, s24, s11
	s_add_i32 s24, s15, 1
	s_cmp_ge_u32 s11, s9
	s_cselect_b32 s9, s24, s15
	s_xor_b32 s9, s9, s14
	s_sub_i32 s14, s9, s14
	s_cmp_eq_u32 s8, 0
	s_cselect_b64 s[8:9], -1, 0
	s_and_b64 vcc, s[8:9], exec
	s_cselect_b32 s8, s14, s12
	s_ashr_i32 s9, s8, 31
	s_lshl_b64 s[8:9], s[8:9], 2
	s_waitcnt lgkmcnt(0)
	s_add_u32 s8, s22, s8
	s_addc_u32 s9, s23, s9
	s_load_dword s15, s[8:9], 0x0
	s_cbranch_vccnz .LBB6_2
; %bb.1:
	s_waitcnt lgkmcnt(0)
	s_max_i32 s11, s15, 0
	s_cbranch_execz .LBB6_3
	s_branch .LBB6_4
.LBB6_2:
                                        ; implicit-def: $sgpr11
.LBB6_3:
	s_mul_i32 s14, s14, s19
	s_sub_i32 s8, s12, s14
	s_sub_i32 s8, s8, s19
	s_waitcnt lgkmcnt(0)
	s_add_i32 s8, s8, s15
	s_max_i32 s8, s8, -1
	s_add_i32 s11, s8, 1
.LBB6_4:
	s_mul_hi_i32 s9, s18, s12
	s_mul_i32 s8, s18, s12
	s_lshl_b64 s[8:9], s[8:9], 2
	s_add_u32 s19, s6, s8
	s_addc_u32 s22, s7, s9
	s_mul_hi_i32 s7, s16, s12
	s_mul_i32 s6, s16, s12
	s_lshl_b64 s[6:7], s[6:7], 2
	s_add_u32 s6, s20, s6
	s_addc_u32 s7, s21, s7
	s_add_u32 s8, s4, 0x48
	s_addc_u32 s9, s5, 0
	s_mov_b32 s14, s10
	s_waitcnt lgkmcnt(0)
	s_mov_b32 s15, 1
	v_mov_b32_e32 v31, v0
	v_mov_b32_e32 v0, s6
	;; [unrolled: 1-line block ×9, first 2 shown]
	s_getpc_b64 s[4:5]
	s_add_u32 s4, s4, _ZN4vllmL13topKPerRowJobILi512ELi2048ELb1ELb0ELb0EEEvPKiPKfiiPiPfii@rel32@lo+4
	s_addc_u32 s5, s5, _ZN4vllmL13topKPerRowJobILi512ELi2048ELb1ELb0ELb0EEEvPKiPKfiiPiPfii@rel32@hi+12
	s_swappc_b64 s[30:31], s[4:5]
	s_endpgm
	.section	.rodata,"a",@progbits
	.p2align	6, 0x0
	.amdhsa_kernel _ZN4vllmL16topKPerRowDecodeILi512ELb1ELb0ELb0EEEvPKfPKiPiiiiiiPfiS4_
		.amdhsa_group_segment_fixed_size 33056
		.amdhsa_private_segment_fixed_size 8
		.amdhsa_kernarg_size 328
		.amdhsa_user_sgpr_count 8
		.amdhsa_user_sgpr_private_segment_buffer 1
		.amdhsa_user_sgpr_dispatch_ptr 0
		.amdhsa_user_sgpr_queue_ptr 0
		.amdhsa_user_sgpr_kernarg_segment_ptr 1
		.amdhsa_user_sgpr_dispatch_id 0
		.amdhsa_user_sgpr_flat_scratch_init 1
		.amdhsa_user_sgpr_kernarg_preload_length 0
		.amdhsa_user_sgpr_kernarg_preload_offset 0
		.amdhsa_user_sgpr_private_segment_size 0
		.amdhsa_uses_dynamic_stack 0
		.amdhsa_system_sgpr_private_segment_wavefront_offset 1
		.amdhsa_system_sgpr_workgroup_id_x 1
		.amdhsa_system_sgpr_workgroup_id_y 1
		.amdhsa_system_sgpr_workgroup_id_z 1
		.amdhsa_system_sgpr_workgroup_info 0
		.amdhsa_system_vgpr_workitem_id 2
		.amdhsa_next_free_vgpr 82
		.amdhsa_next_free_sgpr 59
		.amdhsa_accum_offset 84
		.amdhsa_reserve_vcc 1
		.amdhsa_reserve_flat_scratch 1
		.amdhsa_float_round_mode_32 0
		.amdhsa_float_round_mode_16_64 0
		.amdhsa_float_denorm_mode_32 3
		.amdhsa_float_denorm_mode_16_64 3
		.amdhsa_dx10_clamp 1
		.amdhsa_ieee_mode 1
		.amdhsa_fp16_overflow 0
		.amdhsa_tg_split 0
		.amdhsa_exception_fp_ieee_invalid_op 0
		.amdhsa_exception_fp_denorm_src 0
		.amdhsa_exception_fp_ieee_div_zero 0
		.amdhsa_exception_fp_ieee_overflow 0
		.amdhsa_exception_fp_ieee_underflow 0
		.amdhsa_exception_fp_ieee_inexact 0
		.amdhsa_exception_int_div_zero 0
	.end_amdhsa_kernel
	.section	.text._ZN4vllmL16topKPerRowDecodeILi512ELb1ELb0ELb0EEEvPKfPKiPiiiiiiPfiS4_,"axG",@progbits,_ZN4vllmL16topKPerRowDecodeILi512ELb1ELb0ELb0EEEvPKfPKiPiiiiiiPfiS4_,comdat
.Lfunc_end6:
	.size	_ZN4vllmL16topKPerRowDecodeILi512ELb1ELb0ELb0EEEvPKfPKiPiiiiiiPfiS4_, .Lfunc_end6-_ZN4vllmL16topKPerRowDecodeILi512ELb1ELb0ELb0EEEvPKfPKiPiiiiiiPfiS4_
                                        ; -- End function
	.section	.AMDGPU.csdata,"",@progbits
; Kernel info:
; codeLenInByte = 392
; NumSgprs: 65
; NumVgprs: 82
; NumAgprs: 0
; TotalNumVgprs: 82
; ScratchSize: 8
; MemoryBound: 0
; FloatMode: 240
; IeeeMode: 1
; LDSByteSize: 33056 bytes/workgroup (compile time only)
; SGPRBlocks: 8
; VGPRBlocks: 10
; NumSGPRsForWavesPerEU: 65
; NumVGPRsForWavesPerEU: 82
; AccumOffset: 84
; Occupancy: 2
; WaveLimiterHint : 0
; COMPUTE_PGM_RSRC2:SCRATCH_EN: 1
; COMPUTE_PGM_RSRC2:USER_SGPR: 8
; COMPUTE_PGM_RSRC2:TRAP_HANDLER: 0
; COMPUTE_PGM_RSRC2:TGID_X_EN: 1
; COMPUTE_PGM_RSRC2:TGID_Y_EN: 1
; COMPUTE_PGM_RSRC2:TGID_Z_EN: 1
; COMPUTE_PGM_RSRC2:TIDIG_COMP_CNT: 2
; COMPUTE_PGM_RSRC3_GFX90A:ACCUM_OFFSET: 20
; COMPUTE_PGM_RSRC3_GFX90A:TG_SPLIT: 0
	.text
	.p2align	2                               ; -- Begin function _ZN4vllmL13topKPerRowJobILi512ELi2048ELb1ELb1ELb0EEEvPKiPKfiiPiPfii
	.type	_ZN4vllmL13topKPerRowJobILi512ELi2048ELb1ELb1ELb0EEEvPKiPKfiiPiPfii,@function
_ZN4vllmL13topKPerRowJobILi512ELi2048ELb1ELb1ELb0EEEvPKiPKfiiPiPfii: ; @_ZN4vllmL13topKPerRowJobILi512ELi2048ELb1ELb1ELb0EEEvPKiPKfiiPiPfii
; %bb.0:
	s_waitcnt vmcnt(0) expcnt(0) lgkmcnt(0)
	s_or_saveexec_b64 s[4:5], -1
	buffer_store_dword v40, off, s[0:3], s32 ; 4-byte Folded Spill
	s_mov_b64 exec, s[4:5]
	v_writelane_b32 v40, s34, 0
	v_writelane_b32 v40, s35, 1
	;; [unrolled: 1-line block ×25, first 2 shown]
	v_mov_b32_e32 v10, v3
	v_sub_u32_e32 v24, v10, v2
	s_mov_b32 s50, s15
	v_cmp_le_i32_e32 vcc, v24, v9
	v_and_b32_e32 v20, 0x3ff, v31
	s_and_saveexec_b64 s[4:5], vcc
	s_xor_b64 s[6:7], exec, s[4:5]
	s_cbranch_execz .LBB7_13
; %bb.1:
	v_cmp_lt_i32_e32 vcc, v20, v24
	s_and_saveexec_b64 s[10:11], vcc
	s_cbranch_execz .LBB7_4
; %bb.2:
	v_add_u32_e32 v12, v20, v2
	v_ashrrev_i32_e32 v13, 31, v12
	v_lshlrev_b64 v[12:13], 2, v[12:13]
	v_add_co_u32_e32 v0, vcc, v0, v12
	v_addc_co_u32_e32 v1, vcc, v1, v13, vcc
	v_lshlrev_b32_e32 v3, 2, v20
	v_add_co_u32_e32 v12, vcc, v4, v3
	v_addc_co_u32_e32 v13, vcc, 0, v5, vcc
	v_add_co_u32_e32 v14, vcc, v6, v3
	v_addc_co_u32_e32 v15, vcc, 0, v7, vcc
	s_mov_b64 s[16:17], 0
	v_mov_b32_e32 v3, v20
.LBB7_3:                                ; =>This Inner Loop Header: Depth=1
	flat_load_dword v8, v[0:1]
	v_add_co_u32_e32 v0, vcc, 0x800, v0
	v_add_u32_e32 v11, v2, v3
	v_addc_co_u32_e32 v1, vcc, 0, v1, vcc
	flat_store_dword v[12:13], v11
	v_add_co_u32_e32 v12, vcc, 0x800, v12
	v_add_u32_e32 v3, 0x200, v3
	v_addc_co_u32_e32 v13, vcc, 0, v13, vcc
	v_cmp_ge_i32_e64 s[4:5], v3, v24
	s_or_b64 s[16:17], s[4:5], s[16:17]
	s_waitcnt vmcnt(0) lgkmcnt(0)
	flat_store_dword v[14:15], v8
	v_add_co_u32_e32 v14, vcc, 0x800, v14
	v_addc_co_u32_e32 v15, vcc, 0, v15, vcc
	s_andn2_b64 exec, exec, s[16:17]
	s_cbranch_execnz .LBB7_3
.LBB7_4:
	s_or_b64 exec, exec, s[10:11]
	v_add_u32_e32 v0, v24, v20
	v_cmp_lt_i32_e32 vcc, v0, v9
	s_and_saveexec_b64 s[10:11], vcc
	s_cbranch_execz .LBB7_12
; %bb.5:
	v_add_u32_e32 v1, v20, v10
	v_sub_u32_e32 v1, v1, v2
	v_add_u32_e32 v1, 0x200, v1
	v_max_i32_e32 v1, v9, v1
	v_not_b32_e32 v3, v20
	v_add3_u32 v1, v1, v2, v3
	v_sub_u32_e32 v1, v1, v10
	s_movk_i32 s4, 0x5ff
	v_cmp_lt_u32_e32 vcc, s4, v1
	s_mov_b64 s[4:5], -1
	s_and_saveexec_b64 s[16:17], vcc
	s_cbranch_execz .LBB7_9
; %bb.6:
	v_lshrrev_b32_e32 v1, 9, v1
	v_add_u32_e32 v8, 1, v1
	v_and_b32_e32 v10, 0xfffffc, v8
	v_add_u32_e32 v1, 0x200, v0
	s_mov_b64 s[18:19], 0
	v_mov_b32_e32 v11, -1
	v_mov_b32_e32 v12, 0xff7fffff
	v_mov_b32_e32 v13, v10
	v_pk_mov_b32 v[2:3], v[0:1], v[0:1] op_sel:[0,1]
.LBB7_7:                                ; =>This Inner Loop Header: Depth=1
	v_add_u32_e32 v14, 0x400, v2
	v_ashrrev_i32_e32 v21, 31, v2
	v_mov_b32_e32 v20, v2
	v_add_u32_e32 v13, -4, v13
	v_ashrrev_i32_e32 v15, 31, v14
	v_add_u32_e32 v16, 0x400, v3
	v_lshlrev_b64 v[20:21], 2, v[20:21]
	v_cmp_eq_u32_e32 vcc, 0, v13
	v_lshlrev_b64 v[14:15], 2, v[14:15]
	v_ashrrev_i32_e32 v19, 31, v3
	v_mov_b32_e32 v18, v3
	v_ashrrev_i32_e32 v17, 31, v16
	v_add_co_u32_e64 v22, s[4:5], v4, v20
	s_or_b64 s[18:19], vcc, s[18:19]
	v_add_co_u32_e32 v26, vcc, v4, v14
	v_lshlrev_b64 v[18:19], 2, v[18:19]
	v_addc_co_u32_e64 v23, s[4:5], v5, v21, s[4:5]
	v_lshlrev_b64 v[16:17], 2, v[16:17]
	v_addc_co_u32_e32 v27, vcc, v5, v15, vcc
	v_add_co_u32_e64 v24, s[4:5], v4, v18
	v_add_co_u32_e32 v28, vcc, v4, v16
	v_addc_co_u32_e64 v25, s[4:5], v5, v19, s[4:5]
	v_addc_co_u32_e32 v29, vcc, v5, v17, vcc
	v_add_co_u32_e64 v20, s[4:5], v6, v20
	v_add_co_u32_e32 v14, vcc, v6, v14
	v_addc_co_u32_e64 v21, s[4:5], v7, v21, s[4:5]
	v_addc_co_u32_e32 v15, vcc, v7, v15, vcc
	v_add_u32_e32 v3, 0x800, v3
	v_add_u32_e32 v2, 0x800, v2
	v_add_co_u32_e64 v18, s[4:5], v6, v18
	v_add_co_u32_e32 v16, vcc, v6, v16
	v_addc_co_u32_e64 v19, s[4:5], v7, v19, s[4:5]
	flat_store_dword v[22:23], v11
	flat_store_dword v[24:25], v11
	v_addc_co_u32_e32 v17, vcc, v7, v17, vcc
	flat_store_dword v[20:21], v12
	flat_store_dword v[18:19], v12
	;; [unrolled: 1-line block ×6, first 2 shown]
	s_andn2_b64 exec, exec, s[18:19]
	s_cbranch_execnz .LBB7_7
; %bb.8:
	s_or_b64 exec, exec, s[18:19]
	v_cmp_ne_u32_e32 vcc, v8, v10
	v_lshl_add_u32 v0, v10, 9, v0
	s_orn2_b64 s[4:5], vcc, exec
.LBB7_9:
	s_or_b64 exec, exec, s[16:17]
	s_and_b64 exec, exec, s[4:5]
	s_cbranch_execz .LBB7_12
; %bb.10:
	v_ashrrev_i32_e32 v1, 31, v0
	v_lshlrev_b64 v[10:11], 2, v[0:1]
	v_add_co_u32_e32 v2, vcc, v6, v10
	v_addc_co_u32_e32 v3, vcc, v7, v11, vcc
	v_add_co_u32_e32 v4, vcc, v4, v10
	v_addc_co_u32_e32 v5, vcc, v5, v11, vcc
	s_mov_b64 s[16:17], 0
	v_mov_b32_e32 v1, -1
	v_mov_b32_e32 v6, 0xff7fffff
.LBB7_11:                               ; =>This Inner Loop Header: Depth=1
	flat_store_dword v[4:5], v1
	flat_store_dword v[2:3], v6
	v_add_co_u32_e32 v2, vcc, 0x800, v2
	v_add_u32_e32 v0, 0x200, v0
	v_addc_co_u32_e32 v3, vcc, 0, v3, vcc
	v_add_co_u32_e32 v4, vcc, 0x800, v4
	v_cmp_ge_i32_e64 s[4:5], v0, v9
	s_or_b64 s[16:17], s[4:5], s[16:17]
	v_addc_co_u32_e32 v5, vcc, 0, v5, vcc
	s_andn2_b64 exec, exec, s[16:17]
	s_cbranch_execnz .LBB7_11
.LBB7_12:
	s_or_b64 exec, exec, s[10:11]
                                        ; implicit-def: $vgpr24
                                        ; implicit-def: $vgpr20
                                        ; implicit-def: $vgpr0
                                        ; implicit-def: $vgpr1
                                        ; implicit-def: $vgpr2
                                        ; implicit-def: $vgpr10
                                        ; implicit-def: $vgpr4
                                        ; implicit-def: $vgpr5
                                        ; implicit-def: $vgpr6
                                        ; implicit-def: $vgpr7
                                        ; implicit-def: $vgpr8
                                        ; implicit-def: $vgpr9
                                        ; implicit-def: $vgpr31
.LBB7_13:
	s_andn2_saveexec_b64 s[52:53], s[6:7]
	s_cbranch_execz .LBB7_748
; %bb.14:
	v_cmp_ne_u32_e64 s[6:7], 0, v20
	v_cmp_eq_u32_e64 s[22:23], 0, v20
	s_and_saveexec_b64 s[4:5], s[22:23]
	s_cbranch_execz .LBB7_16
; %bb.15:
	s_mov_b32 s10, 0xc000
	v_mov_b32_e32 v3, 0
	v_add_u32_e64 v11, s10, 0
	ds_write2_b32 v11, v3, v3 offset0:72 offset1:74
.LBB7_16:
	s_or_b64 exec, exec, s[4:5]
	v_lshrrev_b32_e32 v3, 9, v20
	v_xor_b32_e32 v12, 3, v3
	v_lshlrev_b32_e32 v21, 2, v20
	v_add_u32_e32 v11, 0x8960, v21
	v_mov_b32_e32 v3, 0
	v_add_u32_e32 v13, 0x60, v21
	v_cmp_lt_u32_e64 s[16:17], 2, v12
	v_cmp_lt_u32_e64 s[18:19], 1, v12
	s_waitcnt lgkmcnt(0)
	s_barrier
	ds_write2st64_b32 v13, v3, v3 offset0:137 offset1:145
	s_and_saveexec_b64 s[4:5], s[18:19]
	s_cbranch_execz .LBB7_18
; %bb.17:
	ds_write_b32 v11, v3 offset:4096
.LBB7_18:
	s_or_b64 exec, exec, s[4:5]
	s_and_saveexec_b64 s[4:5], s[16:17]
	s_cbranch_execz .LBB7_20
; %bb.19:
	v_mov_b32_e32 v3, 0
	ds_write_b32 v11, v3 offset:6144
.LBB7_20:
	s_or_b64 exec, exec, s[4:5]
	v_cmp_ne_u32_e64 s[4:5], 1, v8
	s_waitcnt lgkmcnt(0)
	s_barrier
	s_and_saveexec_b64 s[10:11], s[4:5]
	s_xor_b64 s[10:11], exec, s[10:11]
	s_cbranch_execz .LBB7_25
; %bb.21:
	v_add_u32_e32 v3, v20, v2
	v_cmp_lt_i32_e32 vcc, v3, v10
	s_and_saveexec_b64 s[20:21], vcc
	s_cbranch_execz .LBB7_24
; %bb.22:
	v_mul_lo_u32 v12, v8, v3
	v_lshlrev_b32_e32 v14, 9, v8
	s_mov_b64 s[24:25], 0
	v_mov_b32_e32 v15, 1
.LBB7_23:                               ; =>This Inner Loop Header: Depth=1
	v_ashrrev_i32_e32 v13, 31, v12
	v_lshlrev_b64 v[16:17], 2, v[12:13]
	v_add_co_u32_e32 v16, vcc, v0, v16
	v_addc_co_u32_e32 v17, vcc, v1, v17, vcc
	flat_load_dword v13, v[16:17]
	v_add_u32_e32 v3, 0x200, v3
	v_add_u32_e32 v12, v12, v14
	s_waitcnt vmcnt(0) lgkmcnt(0)
	v_cvt_f16_f32_e32 v13, v13
	v_xor_b32_e32 v16, -1, v13
	v_and_b32_e32 v16, 0x7fe0, v16
	v_cmp_gt_i16_e32 vcc, 0, v13
	v_cndmask_b32_e32 v13, v16, v13, vcc
	v_lshrrev_b16_e32 v13, 5, v13
	v_lshlrev_b32_e32 v13, 2, v13
	ds_add_u32 v13, v15 offset:35168
	v_cmp_ge_i32_e32 vcc, v3, v10
	s_or_b64 s[24:25], vcc, s[24:25]
	s_andn2_b64 exec, exec, s[24:25]
	s_cbranch_execnz .LBB7_23
.LBB7_24:
	s_or_b64 exec, exec, s[20:21]
.LBB7_25:
	s_or_saveexec_b64 s[30:31], s[10:11]
	v_ashrrev_i32_e32 v3, 31, v2
	s_xor_b64 exec, exec, s[30:31]
	s_cbranch_execz .LBB7_34
; %bb.26:
	v_lshlrev_b64 v[14:15], 2, v[2:3]
	v_add_co_u32_e32 v16, vcc, v0, v14
	v_and_b32_e32 v12, 15, v16
	v_addc_co_u32_e32 v17, vcc, v1, v15, vcc
	v_mov_b32_e32 v13, 0
	v_sub_u32_e32 v18, 16, v12
	v_lshrrev_b32_e32 v18, 2, v18
	v_cmp_ne_u64_e32 vcc, 0, v[12:13]
	v_cndmask_b32_e32 v12, 0, v18, vcc
	v_min_i32_e32 v12, v12, v24
	v_sub_u32_e32 v18, v24, v12
	v_ashrrev_i32_e32 v19, 31, v18
	v_lshrrev_b32_e32 v19, 30, v19
	v_add_u32_e32 v18, v18, v19
	v_ashrrev_i32_e32 v18, 2, v18
	s_mov_b64 s[34:35], 0
	v_ashrrev_i32_e32 v13, 31, v12
	v_cmp_gt_i32_e32 vcc, v18, v20
	s_and_saveexec_b64 s[36:37], vcc
	s_cbranch_execz .LBB7_29
; %bb.27:
	v_lshlrev_b32_e32 v19, 4, v20
	v_lshlrev_b64 v[22:23], 2, v[12:13]
	v_add_co_u32_e32 v13, vcc, v19, v22
	v_addc_co_u32_e32 v19, vcc, 0, v23, vcc
	v_add_co_u32_e32 v13, vcc, v13, v14
	v_addc_co_u32_e32 v15, vcc, v19, v15, vcc
	;; [unrolled: 2-line block ×3, first 2 shown]
	v_mov_b32_e32 v13, 1
	v_mov_b32_e32 v19, v20
.LBB7_28:                               ; =>This Inner Loop Header: Depth=1
	flat_load_dwordx4 v[26:29], v[14:15]
	v_add_u32_e32 v19, 0x200, v19
	v_add_co_u32_e32 v14, vcc, 0x2000, v14
	v_cmp_ge_i32_e64 s[10:11], v19, v18
	s_or_b64 s[34:35], s[10:11], s[34:35]
	v_addc_co_u32_e32 v15, vcc, 0, v15, vcc
	s_waitcnt vmcnt(0) lgkmcnt(0)
	v_cvt_f16_f32_e32 v22, v26
	v_cvt_f16_f32_e32 v23, v27
	;; [unrolled: 1-line block ×4, first 2 shown]
	v_xor_b32_e32 v27, -1, v22
	v_xor_b32_e32 v28, -1, v23
	;; [unrolled: 1-line block ×4, first 2 shown]
	v_and_b32_e32 v27, 0x7fe0, v27
	v_cmp_gt_i16_e64 s[28:29], 0, v22
	v_and_b32_e32 v28, 0x7fe0, v28
	v_cmp_gt_i16_e64 s[20:21], 0, v23
	;; [unrolled: 2-line block ×4, first 2 shown]
	v_cndmask_b32_e64 v22, v27, v22, s[28:29]
	v_cndmask_b32_e64 v23, v28, v23, s[20:21]
	;; [unrolled: 1-line block ×4, first 2 shown]
	v_lshrrev_b16_e32 v22, 5, v22
	v_lshrrev_b16_e32 v23, 5, v23
	;; [unrolled: 1-line block ×4, first 2 shown]
	v_lshlrev_b32_e32 v22, 2, v22
	v_lshlrev_b32_e32 v23, 2, v23
	;; [unrolled: 1-line block ×4, first 2 shown]
	ds_add_u32 v22, v13 offset:35168
	ds_add_u32 v23, v13 offset:35168
	;; [unrolled: 1-line block ×4, first 2 shown]
	s_andn2_b64 exec, exec, s[34:35]
	s_cbranch_execnz .LBB7_28
.LBB7_29:
	s_or_b64 exec, exec, s[36:37]
	v_cmp_gt_u32_e32 vcc, v12, v20
	s_and_saveexec_b64 s[10:11], vcc
	s_cbranch_execz .LBB7_31
; %bb.30:
	v_add_co_u32_e32 v14, vcc, v16, v21
	v_addc_co_u32_e32 v15, vcc, 0, v17, vcc
	flat_load_dword v13, v[14:15]
	s_waitcnt vmcnt(0) lgkmcnt(0)
	v_cvt_f16_f32_e32 v13, v13
	v_xor_b32_e32 v14, -1, v13
	v_and_b32_e32 v14, 0x7fe0, v14
	v_cmp_gt_i16_e32 vcc, 0, v13
	v_cndmask_b32_e32 v13, v14, v13, vcc
	v_lshrrev_b16_e32 v13, 5, v13
	v_lshlrev_b32_e32 v13, 2, v13
	v_mov_b32_e32 v14, 1
	ds_add_u32 v13, v14 offset:35168
.LBB7_31:
	s_or_b64 exec, exec, s[10:11]
	v_lshlrev_b32_e32 v13, 2, v18
	v_add3_u32 v12, v12, v20, v13
	v_cmp_lt_i32_e32 vcc, v12, v24
	s_and_saveexec_b64 s[10:11], vcc
	s_cbranch_execz .LBB7_33
; %bb.32:
	v_ashrrev_i32_e32 v13, 31, v12
	v_lshlrev_b64 v[12:13], 2, v[12:13]
	v_add_co_u32_e32 v12, vcc, v16, v12
	v_addc_co_u32_e32 v13, vcc, v17, v13, vcc
	flat_load_dword v12, v[12:13]
	s_waitcnt vmcnt(0) lgkmcnt(0)
	v_cvt_f16_f32_e32 v12, v12
	v_xor_b32_e32 v13, -1, v12
	v_and_b32_e32 v13, 0x7fe0, v13
	v_cmp_gt_i16_e32 vcc, 0, v12
	v_cndmask_b32_e32 v12, v13, v12, vcc
	v_lshrrev_b16_e32 v12, 5, v12
	v_lshlrev_b32_e32 v12, 2, v12
	v_mov_b32_e32 v13, 1
	ds_add_u32 v12, v13 offset:35168
.LBB7_33:
	s_or_b64 exec, exec, s[10:11]
.LBB7_34:
	s_or_b64 exec, exec, s[30:31]
	s_waitcnt lgkmcnt(0)
	s_barrier
	s_load_dwordx2 s[10:11], s[8:9], 0x0
	s_load_dword s15, s[8:9], 0x8
	v_mov_b32_e32 v12, 0
	v_add_u32_e32 v29, 0x8120, v21
	v_lshrrev_b32_e32 v19, 3, v20
	s_waitcnt lgkmcnt(0)
	s_cmp_lt_u32 s13, s11
	s_cselect_b32 s11, 14, 20
	s_cmp_lt_u32 s14, s15
	s_cselect_b32 s13, 16, 22
	s_add_u32 s14, s8, s13
	s_addc_u32 s15, s9, 0
	s_add_u32 s20, s8, s11
	s_addc_u32 s21, s9, 0
	s_cmp_lt_u32 s12, s10
	s_cselect_b32 s10, 12, 18
	s_add_u32 s8, s8, s10
	s_addc_u32 s9, s9, 0
	global_load_ushort v17, v12, s[14:15]
	global_load_ushort v13, v12, s[20:21]
	;; [unrolled: 1-line block ×3, first 2 shown]
	ds_read_b32 v14, v12 offset:49448
	ds_read_b32 v16, v29 offset:2112
	v_lshrrev_b32_e32 v22, 2, v20
	v_mov_b32_e32 v15, 0x8120
	v_and_b32_e32 v19, 0x7c, v19
	v_lshl_add_u32 v22, v20, 3, v22
	v_cmp_lt_u32_e64 s[20:21], 63, v20
	v_cmp_gt_u32_e64 s[10:11], 64, v20
	v_add_u32_e32 v27, v29, v19
	v_lshl_add_u32 v25, v22, 2, v15
	s_waitcnt lgkmcnt(0)
	s_barrier
	ds_write_b32 v27, v16
	s_waitcnt lgkmcnt(0)
	s_barrier
	s_waitcnt vmcnt(0)
	v_readfirstlane_b32 s25, v17
	v_readfirstlane_b32 s24, v13
	;; [unrolled: 1-line block ×3, first 2 shown]
	s_and_saveexec_b64 s[8:9], s[10:11]
	s_cbranch_execz .LBB7_36
; %bb.35:
	ds_read2_b32 v[18:19], v25 offset1:1
	ds_read2_b32 v[22:23], v25 offset0:2 offset1:3
	ds_read2_b32 v[32:33], v25 offset0:4 offset1:5
	;; [unrolled: 1-line block ×3, first 2 shown]
	v_mbcnt_lo_u32_b32 v17, -1, 0
	s_waitcnt lgkmcnt(3)
	v_add_u32_e32 v26, v19, v18
	s_waitcnt lgkmcnt(2)
	v_add3_u32 v26, v26, v22, v23
	s_waitcnt lgkmcnt(1)
	v_add3_u32 v26, v26, v32, v33
	v_mbcnt_hi_u32_b32 v17, -1, v17
	s_waitcnt lgkmcnt(0)
	v_add3_u32 v26, v26, v34, v35
	v_and_b32_e32 v28, 15, v17
	v_cmp_ne_u32_e32 vcc, 0, v28
	v_mov_b32_dpp v30, v26 row_shr:1 row_mask:0xf bank_mask:0xf
	v_cndmask_b32_e32 v30, 0, v30, vcc
	v_add_u32_e32 v26, v30, v26
	v_cmp_lt_u32_e32 vcc, 1, v28
	s_nop 0
	v_mov_b32_dpp v30, v26 row_shr:2 row_mask:0xf bank_mask:0xf
	v_cndmask_b32_e32 v30, 0, v30, vcc
	v_add_u32_e32 v26, v26, v30
	v_cmp_lt_u32_e32 vcc, 3, v28
	s_nop 0
	v_mov_b32_dpp v30, v26 row_shr:4 row_mask:0xf bank_mask:0xf
	v_cndmask_b32_e32 v30, 0, v30, vcc
	v_add_u32_e32 v26, v26, v30
	v_cmp_lt_u32_e32 vcc, 7, v28
	s_nop 0
	v_mov_b32_dpp v30, v26 row_shr:8 row_mask:0xf bank_mask:0xf
	v_cndmask_b32_e32 v28, 0, v30, vcc
	v_add_u32_e32 v26, v26, v28
	v_bfe_i32 v30, v17, 4, 1
	v_cmp_lt_u32_e32 vcc, 31, v17
	v_mov_b32_dpp v28, v26 row_bcast:15 row_mask:0xf bank_mask:0xf
	v_and_b32_e32 v28, v30, v28
	v_add_u32_e32 v26, v26, v28
	v_and_b32_e32 v30, 64, v17
	s_nop 0
	v_mov_b32_dpp v28, v26 row_bcast:31 row_mask:0xf bank_mask:0xf
	v_cndmask_b32_e32 v28, 0, v28, vcc
	v_add_u32_e32 v26, v26, v28
	v_add_u32_e32 v28, -1, v17
	v_cmp_lt_i32_e32 vcc, v28, v30
	v_cndmask_b32_e32 v17, v28, v17, vcc
	v_lshlrev_b32_e32 v17, 2, v17
	ds_bpermute_b32 v17, v17, v26
	s_waitcnt lgkmcnt(0)
	v_add_u32_e32 v17, v17, v18
	v_cndmask_b32_e64 v16, v17, v16, s[22:23]
	v_add_u32_e32 v17, v16, v19
	ds_write2_b32 v25, v16, v17 offset1:1
	v_add_u32_e32 v16, v17, v22
	v_add_u32_e32 v17, v16, v23
	ds_write2_b32 v25, v16, v17 offset0:2 offset1:3
	v_add_u32_e32 v16, v17, v32
	v_add_u32_e32 v17, v16, v33
	ds_write2_b32 v25, v16, v17 offset0:4 offset1:5
	;; [unrolled: 3-line block ×3, first 2 shown]
.LBB7_36:
	s_or_b64 exec, exec, s[8:9]
	v_add_u32_e32 v16, -1, v20
	v_lshrrev_b32_e32 v17, 5, v16
	v_add_u32_e32 v16, v17, v16
	v_lshl_add_u32 v26, v16, 2, v15
	s_waitcnt lgkmcnt(0)
	s_barrier
	s_and_saveexec_b64 s[8:9], s[6:7]
	s_cbranch_execz .LBB7_38
; %bb.37:
	ds_read_b32 v12, v26
.LBB7_38:
	s_or_b64 exec, exec, s[8:9]
	v_mov_b32_e32 v16, 0
	ds_read_b32 v18, v16 offset:35160
	s_movk_i32 s8, 0x1ff
	s_waitcnt lgkmcnt(1)
	v_add_u32_e32 v17, v12, v14
	v_bfe_u32 v15, v31, 20, 10
	v_cmp_ne_u32_e64 s[12:13], s8, v20
	s_waitcnt lgkmcnt(0)
	v_add_u32_e32 v12, v18, v14
	v_cmp_lt_i32_e32 vcc, v17, v9
	ds_write_b32 v29, v17 offset:2112
	s_waitcnt lgkmcnt(0)
	s_barrier
	s_and_saveexec_b64 s[8:9], vcc
	s_cbranch_execz .LBB7_44
; %bb.39:
	v_mov_b32_e32 v14, v12
	s_and_saveexec_b64 s[14:15], s[12:13]
	s_cbranch_execz .LBB7_41
; %bb.40:
	ds_read_b32 v14, v11 offset:4
.LBB7_41:
	s_or_b64 exec, exec, s[14:15]
	s_waitcnt lgkmcnt(0)
	v_cmp_ge_i32_e32 vcc, v14, v9
	v_mov_b32_e32 v16, 0
	s_and_saveexec_b64 s[14:15], vcc
	s_cbranch_execz .LBB7_43
; %bb.42:
	s_mov_b32 s27, 0xc000
	v_sub_u32_e32 v14, v14, v17
	v_add_u32_e64 v16, s27, 0
	ds_write2_b32 v16, v14, v20 offset0:73 offset1:75
	v_mov_b32_e32 v16, 1
.LBB7_43:
	s_or_b64 exec, exec, s[14:15]
.LBB7_44:
	s_or_b64 exec, exec, s[8:9]
	s_and_b32 s9, 0xffff, s26
	v_mul_u32_u24_e32 v13, v15, v13
	s_mul_i32 s24, s24, s9
	v_or_b32_dpp v15, v16, v16 row_shl:1 row_mask:0xf bank_mask:0xf bound_ctrl:1
	s_and_b32 s8, 0xffff, s25
	s_bfe_i32 s14, s24, 0x180000
	v_or_b32_dpp v15, v15, v15 row_shl:2 row_mask:0xf bank_mask:0xf bound_ctrl:1
	s_mul_i32 s8, s14, s8
	s_add_i32 s8, s8, 63
	v_or_b32_dpp v15, v15, v15 row_shl:4 row_mask:0xf bank_mask:0xf bound_ctrl:1
	s_andn2_b32 s8, s8, 63
	s_cmp_lg_u32 s8, 64
	v_or_b32_dpp v15, v15, v15 row_shl:8 row_mask:0xf bank_mask:0xf bound_ctrl:1
	s_cselect_b64 s[54:55], -1, 0
	s_bitcmp1_b32 exec_hi, 0
	v_mov_b32_dpp v16, v15 wave_shl:1 row_mask:0xf bank_mask:0xf bound_ctrl:1
	v_bfe_u32 v14, v31, 10, 10
	v_add_u32_e32 v13, v13, v14
	v_or_b32_dpp v15, v16, v15 row_mirror row_mask:0xf bank_mask:0xf bound_ctrl:1
	v_readlane_b32 s14, v15, 32
	s_cselect_b32 s14, s14, 0
	v_readlane_b32 s15, v15, 0
	s_or_b32 s24, s14, s15
	s_cmp_eq_u32 s8, 64
	v_mad_u64_u32 v[14:15], s[8:9], v13, s9, v[20:21]
	v_lshrrev_b32_e32 v28, 6, v14
	v_cmp_lt_u32_e64 s[14:15], 63, v14
	v_mov_b32_e32 v13, s24
	s_cbranch_scc1 .LBB7_51
; %bb.45:
	v_mbcnt_lo_u32_b32 v13, -1, 0
	v_mbcnt_hi_u32_b32 v13, -1, v13
	v_or_b32_e32 v14, v13, v28
	v_cmp_eq_u32_e32 vcc, 0, v14
	s_and_saveexec_b64 s[8:9], vcc
	s_cbranch_execz .LBB7_47
; %bb.46:
	v_mov_b32_e32 v14, 0
	v_mov_b32_e32 v15, s24
	ds_write_b32 v14, v15 offset:32768
.LBB7_47:
	s_or_b64 exec, exec, s[8:9]
	v_cmp_eq_u32_e32 vcc, 0, v13
	s_and_b64 s[26:27], s[14:15], vcc
	s_waitcnt lgkmcnt(0)
	s_barrier
	s_and_saveexec_b64 s[8:9], s[26:27]
	s_cbranch_execz .LBB7_50
; %bb.48:
	v_mbcnt_lo_u32_b32 v13, exec_lo, 0
	v_mbcnt_hi_u32_b32 v13, exec_hi, v13
	v_cmp_eq_u32_e32 vcc, 0, v13
	s_and_b64 exec, exec, vcc
	s_cbranch_execz .LBB7_50
; %bb.49:
	v_mov_b32_e32 v13, 0
	v_mov_b32_e32 v14, s24
	ds_or_b32 v13, v14 offset:32768
.LBB7_50:
	s_or_b64 exec, exec, s[8:9]
	v_mov_b32_e32 v13, 0
	s_waitcnt lgkmcnt(0)
	s_barrier
	ds_read_b32 v13, v13 offset:32768
	s_waitcnt lgkmcnt(0)
	s_barrier
.LBB7_51:
	v_cmp_eq_u32_e32 vcc, 0, v13
	s_cbranch_vccz .LBB7_105
; %bb.52:
	ds_read_b32 v13, v11 offset:2048
	s_waitcnt lgkmcnt(0)
	s_barrier
	ds_write_b32 v27, v13
	s_waitcnt lgkmcnt(0)
	s_barrier
	s_and_saveexec_b64 s[8:9], s[10:11]
	s_cbranch_execz .LBB7_54
; %bb.53:
	ds_read2_b32 v[14:15], v25 offset1:1
	ds_read2_b32 v[16:17], v25 offset0:2 offset1:3
	ds_read2_b32 v[18:19], v25 offset0:4 offset1:5
	ds_read2_b32 v[22:23], v25 offset0:6 offset1:7
	v_mbcnt_lo_u32_b32 v30, -1, 0
	s_waitcnt lgkmcnt(3)
	v_add_u32_e32 v31, v15, v14
	s_waitcnt lgkmcnt(2)
	v_add3_u32 v31, v31, v16, v17
	s_waitcnt lgkmcnt(1)
	v_add3_u32 v31, v31, v18, v19
	v_mbcnt_hi_u32_b32 v30, -1, v30
	s_waitcnt lgkmcnt(0)
	v_add3_u32 v31, v31, v22, v23
	v_and_b32_e32 v32, 15, v30
	v_cmp_ne_u32_e32 vcc, 0, v32
	v_mov_b32_dpp v33, v31 row_shr:1 row_mask:0xf bank_mask:0xf
	v_cndmask_b32_e32 v33, 0, v33, vcc
	v_add_u32_e32 v31, v33, v31
	v_cmp_lt_u32_e32 vcc, 1, v32
	s_nop 0
	v_mov_b32_dpp v33, v31 row_shr:2 row_mask:0xf bank_mask:0xf
	v_cndmask_b32_e32 v33, 0, v33, vcc
	v_add_u32_e32 v31, v31, v33
	v_cmp_lt_u32_e32 vcc, 3, v32
	s_nop 0
	;; [unrolled: 5-line block ×3, first 2 shown]
	v_mov_b32_dpp v33, v31 row_shr:8 row_mask:0xf bank_mask:0xf
	v_cndmask_b32_e32 v32, 0, v33, vcc
	v_add_u32_e32 v31, v31, v32
	v_bfe_i32 v33, v30, 4, 1
	v_cmp_lt_u32_e32 vcc, 31, v30
	v_mov_b32_dpp v32, v31 row_bcast:15 row_mask:0xf bank_mask:0xf
	v_and_b32_e32 v32, v33, v32
	v_add_u32_e32 v31, v31, v32
	v_and_b32_e32 v33, 64, v30
	s_nop 0
	v_mov_b32_dpp v32, v31 row_bcast:31 row_mask:0xf bank_mask:0xf
	v_cndmask_b32_e32 v32, 0, v32, vcc
	v_add_u32_e32 v31, v31, v32
	v_add_u32_e32 v32, -1, v30
	v_cmp_lt_i32_e32 vcc, v32, v33
	v_cndmask_b32_e32 v30, v32, v30, vcc
	v_lshlrev_b32_e32 v30, 2, v30
	ds_bpermute_b32 v30, v30, v31
	s_waitcnt lgkmcnt(0)
	v_add_u32_e32 v14, v30, v14
	v_cndmask_b32_e64 v13, v14, v13, s[22:23]
	v_add_u32_e32 v14, v13, v15
	ds_write2_b32 v25, v13, v14 offset1:1
	v_add_u32_e32 v13, v14, v16
	v_add_u32_e32 v14, v13, v17
	ds_write2_b32 v25, v13, v14 offset0:2 offset1:3
	v_add_u32_e32 v13, v14, v18
	v_add_u32_e32 v14, v13, v19
	ds_write2_b32 v25, v13, v14 offset0:4 offset1:5
	;; [unrolled: 3-line block ×3, first 2 shown]
.LBB7_54:
	s_or_b64 exec, exec, s[8:9]
	v_mov_b32_e32 v13, 0
	v_mov_b32_e32 v14, 0
	s_waitcnt lgkmcnt(0)
	s_barrier
	s_and_saveexec_b64 s[8:9], s[6:7]
	s_cbranch_execz .LBB7_56
; %bb.55:
	ds_read_b32 v14, v26
.LBB7_56:
	s_or_b64 exec, exec, s[8:9]
	ds_read_b32 v15, v13 offset:35160
	s_waitcnt lgkmcnt(1)
	v_add_u32_e32 v14, v14, v12
	v_cmp_lt_i32_e32 vcc, v14, v9
	ds_write_b32 v11, v14 offset:2048
	s_waitcnt lgkmcnt(0)
	v_add_u32_e32 v12, v15, v12
	s_barrier
	s_and_saveexec_b64 s[8:9], vcc
	s_cbranch_execz .LBB7_62
; %bb.57:
	v_mov_b32_e32 v15, v12
	s_and_saveexec_b64 s[24:25], s[12:13]
	s_cbranch_execz .LBB7_59
; %bb.58:
	ds_read_b32 v15, v11 offset:2052
.LBB7_59:
	s_or_b64 exec, exec, s[24:25]
	s_waitcnt lgkmcnt(0)
	v_cmp_ge_i32_e32 vcc, v15, v9
	v_mov_b32_e32 v13, 0
	s_and_saveexec_b64 s[24:25], vcc
	s_cbranch_execz .LBB7_61
; %bb.60:
	s_mov_b32 s26, 0xc000
	v_add_u32_e32 v13, 0x200, v20
	v_sub_u32_e32 v14, v15, v14
	v_add_u32_e64 v15, s26, 0
	ds_write2_b32 v15, v14, v13 offset0:73 offset1:75
	v_mov_b32_e32 v13, 1
.LBB7_61:
	s_or_b64 exec, exec, s[24:25]
.LBB7_62:
	s_or_b64 exec, exec, s[8:9]
	v_or_b32_dpp v13, v13, v13 row_shl:1 row_mask:0xf bank_mask:0xf bound_ctrl:1
	s_bitcmp1_b32 exec_hi, 0
	s_nop 0
	v_or_b32_dpp v13, v13, v13 row_shl:2 row_mask:0xf bank_mask:0xf bound_ctrl:1
	s_nop 1
	v_or_b32_dpp v13, v13, v13 row_shl:4 row_mask:0xf bank_mask:0xf bound_ctrl:1
	;; [unrolled: 2-line block ×3, first 2 shown]
	s_nop 1
	v_mov_b32_dpp v14, v13 wave_shl:1 row_mask:0xf bank_mask:0xf bound_ctrl:1
	s_nop 1
	v_or_b32_dpp v13, v14, v13 row_mirror row_mask:0xf bank_mask:0xf bound_ctrl:1
	v_readlane_b32 s8, v13, 32
	s_cselect_b32 s8, s8, 0
	v_readlane_b32 s9, v13, 0
	s_or_b32 s26, s8, s9
	v_cndmask_b32_e64 v13, 0, 1, s[54:55]
	v_cmp_ne_u32_e64 s[8:9], 1, v13
	s_andn2_b64 vcc, exec, s[54:55]
	v_mov_b32_e32 v13, s26
	s_cbranch_vccnz .LBB7_69
; %bb.63:
	v_mbcnt_lo_u32_b32 v13, -1, 0
	v_mbcnt_hi_u32_b32 v13, -1, v13
	v_or_b32_e32 v14, v13, v28
	v_cmp_eq_u32_e32 vcc, 0, v14
	s_and_saveexec_b64 s[24:25], vcc
	s_cbranch_execz .LBB7_65
; %bb.64:
	v_mov_b32_e32 v14, 0
	v_mov_b32_e32 v15, s26
	ds_write_b32 v14, v15 offset:32768
.LBB7_65:
	s_or_b64 exec, exec, s[24:25]
	v_cmp_eq_u32_e32 vcc, 0, v13
	s_and_b64 s[28:29], s[14:15], vcc
	s_waitcnt lgkmcnt(0)
	s_barrier
	s_and_saveexec_b64 s[24:25], s[28:29]
	s_cbranch_execz .LBB7_68
; %bb.66:
	v_mbcnt_lo_u32_b32 v13, exec_lo, 0
	v_mbcnt_hi_u32_b32 v13, exec_hi, v13
	v_cmp_eq_u32_e32 vcc, 0, v13
	s_and_b64 exec, exec, vcc
	s_cbranch_execz .LBB7_68
; %bb.67:
	v_mov_b32_e32 v13, 0
	v_mov_b32_e32 v14, s26
	ds_or_b32 v13, v14 offset:32768
.LBB7_68:
	s_or_b64 exec, exec, s[24:25]
	v_mov_b32_e32 v13, 0
	s_waitcnt lgkmcnt(0)
	s_barrier
	ds_read_b32 v13, v13 offset:32768
	s_waitcnt lgkmcnt(0)
	s_barrier
.LBB7_69:
	v_cmp_ne_u32_e32 vcc, 0, v13
	s_cbranch_vccnz .LBB7_105
; %bb.70:
	ds_read_b32 v13, v11 offset:4096
	s_waitcnt lgkmcnt(0)
	s_barrier
	ds_write_b32 v27, v13
	s_waitcnt lgkmcnt(0)
	s_barrier
	s_and_saveexec_b64 s[24:25], s[10:11]
	s_cbranch_execz .LBB7_72
; %bb.71:
	ds_read2_b32 v[14:15], v25 offset1:1
	ds_read2_b32 v[16:17], v25 offset0:2 offset1:3
	ds_read2_b32 v[18:19], v25 offset0:4 offset1:5
	;; [unrolled: 1-line block ×3, first 2 shown]
	v_mbcnt_lo_u32_b32 v30, -1, 0
	s_waitcnt lgkmcnt(3)
	v_add_u32_e32 v31, v15, v14
	s_waitcnt lgkmcnt(2)
	v_add3_u32 v31, v31, v16, v17
	s_waitcnt lgkmcnt(1)
	v_add3_u32 v31, v31, v18, v19
	v_mbcnt_hi_u32_b32 v30, -1, v30
	s_waitcnt lgkmcnt(0)
	v_add3_u32 v31, v31, v22, v23
	v_and_b32_e32 v32, 15, v30
	v_cmp_ne_u32_e32 vcc, 0, v32
	v_mov_b32_dpp v33, v31 row_shr:1 row_mask:0xf bank_mask:0xf
	v_cndmask_b32_e32 v33, 0, v33, vcc
	v_add_u32_e32 v31, v33, v31
	v_cmp_lt_u32_e32 vcc, 1, v32
	s_nop 0
	v_mov_b32_dpp v33, v31 row_shr:2 row_mask:0xf bank_mask:0xf
	v_cndmask_b32_e32 v33, 0, v33, vcc
	v_add_u32_e32 v31, v31, v33
	v_cmp_lt_u32_e32 vcc, 3, v32
	s_nop 0
	;; [unrolled: 5-line block ×3, first 2 shown]
	v_mov_b32_dpp v33, v31 row_shr:8 row_mask:0xf bank_mask:0xf
	v_cndmask_b32_e32 v32, 0, v33, vcc
	v_add_u32_e32 v31, v31, v32
	v_bfe_i32 v33, v30, 4, 1
	v_cmp_lt_u32_e32 vcc, 31, v30
	v_mov_b32_dpp v32, v31 row_bcast:15 row_mask:0xf bank_mask:0xf
	v_and_b32_e32 v32, v33, v32
	v_add_u32_e32 v31, v31, v32
	v_and_b32_e32 v33, 64, v30
	s_nop 0
	v_mov_b32_dpp v32, v31 row_bcast:31 row_mask:0xf bank_mask:0xf
	v_cndmask_b32_e32 v32, 0, v32, vcc
	v_add_u32_e32 v31, v31, v32
	v_add_u32_e32 v32, -1, v30
	v_cmp_lt_i32_e32 vcc, v32, v33
	v_cndmask_b32_e32 v30, v32, v30, vcc
	v_lshlrev_b32_e32 v30, 2, v30
	ds_bpermute_b32 v30, v30, v31
	s_waitcnt lgkmcnt(0)
	v_add_u32_e32 v14, v30, v14
	v_cndmask_b32_e64 v13, v14, v13, s[22:23]
	v_add_u32_e32 v14, v13, v15
	ds_write2_b32 v25, v13, v14 offset1:1
	v_add_u32_e32 v13, v14, v16
	v_add_u32_e32 v14, v13, v17
	ds_write2_b32 v25, v13, v14 offset0:2 offset1:3
	v_add_u32_e32 v13, v14, v18
	v_add_u32_e32 v14, v13, v19
	ds_write2_b32 v25, v13, v14 offset0:4 offset1:5
	;; [unrolled: 3-line block ×3, first 2 shown]
.LBB7_72:
	s_or_b64 exec, exec, s[24:25]
	v_mov_b32_e32 v13, 0
	v_mov_b32_e32 v14, 0
	s_waitcnt lgkmcnt(0)
	s_barrier
	s_and_saveexec_b64 s[24:25], s[6:7]
	s_cbranch_execz .LBB7_74
; %bb.73:
	ds_read_b32 v14, v26
.LBB7_74:
	s_or_b64 exec, exec, s[24:25]
	ds_read_b32 v15, v13 offset:35160
	s_waitcnt lgkmcnt(1)
	v_add_u32_e32 v14, v14, v12
	v_cmp_lt_i32_e32 vcc, v14, v9
	ds_write_b32 v11, v14 offset:4096
	s_waitcnt lgkmcnt(0)
	v_add_u32_e32 v12, v15, v12
	s_barrier
	s_and_saveexec_b64 s[24:25], vcc
	s_cbranch_execz .LBB7_80
; %bb.75:
	v_mov_b32_e32 v15, v12
	s_and_saveexec_b64 s[26:27], s[12:13]
	s_cbranch_execz .LBB7_77
; %bb.76:
	ds_read_b32 v15, v11 offset:4100
.LBB7_77:
	s_or_b64 exec, exec, s[26:27]
	s_waitcnt lgkmcnt(0)
	v_cmp_ge_i32_e32 vcc, v15, v9
	v_mov_b32_e32 v13, 0
	s_and_saveexec_b64 s[26:27], vcc
	s_cbranch_execz .LBB7_79
; %bb.78:
	s_mov_b32 s28, 0xc000
	v_or_b32_e32 v13, 0x400, v20
	v_sub_u32_e32 v14, v15, v14
	v_add_u32_e64 v15, s28, 0
	ds_write2_b32 v15, v14, v13 offset0:73 offset1:75
	v_mov_b32_e32 v13, 1
.LBB7_79:
	s_or_b64 exec, exec, s[26:27]
.LBB7_80:
	s_or_b64 exec, exec, s[24:25]
	v_or_b32_dpp v13, v13, v13 row_shl:1 row_mask:0xf bank_mask:0xf bound_ctrl:1
	s_bitcmp1_b32 exec_hi, 0
	s_nop 0
	v_or_b32_dpp v13, v13, v13 row_shl:2 row_mask:0xf bank_mask:0xf bound_ctrl:1
	s_nop 1
	v_or_b32_dpp v13, v13, v13 row_shl:4 row_mask:0xf bank_mask:0xf bound_ctrl:1
	s_nop 1
	v_or_b32_dpp v13, v13, v13 row_shl:8 row_mask:0xf bank_mask:0xf bound_ctrl:1
	s_nop 1
	v_mov_b32_dpp v14, v13 wave_shl:1 row_mask:0xf bank_mask:0xf bound_ctrl:1
	s_nop 1
	v_or_b32_dpp v13, v14, v13 row_mirror row_mask:0xf bank_mask:0xf bound_ctrl:1
	v_readlane_b32 s24, v13, 32
	s_cselect_b32 s24, s24, 0
	v_readlane_b32 s25, v13, 0
	s_or_b32 s26, s24, s25
	s_and_b64 vcc, exec, s[8:9]
	v_mov_b32_e32 v13, s26
	s_cbranch_vccnz .LBB7_87
; %bb.81:
	v_mbcnt_lo_u32_b32 v13, -1, 0
	v_mbcnt_hi_u32_b32 v13, -1, v13
	v_or_b32_e32 v14, v13, v28
	v_cmp_eq_u32_e32 vcc, 0, v14
	s_and_saveexec_b64 s[24:25], vcc
	s_cbranch_execz .LBB7_83
; %bb.82:
	v_mov_b32_e32 v14, 0
	v_mov_b32_e32 v15, s26
	ds_write_b32 v14, v15 offset:32768
.LBB7_83:
	s_or_b64 exec, exec, s[24:25]
	v_cmp_eq_u32_e32 vcc, 0, v13
	s_and_b64 s[28:29], s[14:15], vcc
	s_waitcnt lgkmcnt(0)
	s_barrier
	s_and_saveexec_b64 s[24:25], s[28:29]
	s_cbranch_execz .LBB7_86
; %bb.84:
	v_mbcnt_lo_u32_b32 v13, exec_lo, 0
	v_mbcnt_hi_u32_b32 v13, exec_hi, v13
	v_cmp_eq_u32_e32 vcc, 0, v13
	s_and_b64 exec, exec, vcc
	s_cbranch_execz .LBB7_86
; %bb.85:
	v_mov_b32_e32 v13, 0
	v_mov_b32_e32 v14, s26
	ds_or_b32 v13, v14 offset:32768
.LBB7_86:
	s_or_b64 exec, exec, s[24:25]
	v_mov_b32_e32 v13, 0
	s_waitcnt lgkmcnt(0)
	s_barrier
	ds_read_b32 v13, v13 offset:32768
	s_waitcnt lgkmcnt(0)
	s_barrier
.LBB7_87:
	v_cmp_ne_u32_e32 vcc, 0, v13
	s_cbranch_vccnz .LBB7_105
; %bb.88:
	ds_read_b32 v13, v11 offset:6144
	s_waitcnt lgkmcnt(0)
	s_barrier
	ds_write_b32 v27, v13
	s_waitcnt lgkmcnt(0)
	s_barrier
	s_and_saveexec_b64 s[24:25], s[10:11]
	s_cbranch_execz .LBB7_90
; %bb.89:
	ds_read2_b32 v[14:15], v25 offset1:1
	ds_read2_b32 v[16:17], v25 offset0:2 offset1:3
	ds_read2_b32 v[18:19], v25 offset0:4 offset1:5
	;; [unrolled: 1-line block ×3, first 2 shown]
	v_mbcnt_lo_u32_b32 v30, -1, 0
	s_waitcnt lgkmcnt(3)
	v_add_u32_e32 v31, v15, v14
	s_waitcnt lgkmcnt(2)
	v_add3_u32 v31, v31, v16, v17
	s_waitcnt lgkmcnt(1)
	v_add3_u32 v31, v31, v18, v19
	v_mbcnt_hi_u32_b32 v30, -1, v30
	s_waitcnt lgkmcnt(0)
	v_add3_u32 v31, v31, v22, v23
	v_and_b32_e32 v32, 15, v30
	v_cmp_ne_u32_e32 vcc, 0, v32
	v_mov_b32_dpp v33, v31 row_shr:1 row_mask:0xf bank_mask:0xf
	v_cndmask_b32_e32 v33, 0, v33, vcc
	v_add_u32_e32 v31, v33, v31
	v_cmp_lt_u32_e32 vcc, 1, v32
	s_nop 0
	v_mov_b32_dpp v33, v31 row_shr:2 row_mask:0xf bank_mask:0xf
	v_cndmask_b32_e32 v33, 0, v33, vcc
	v_add_u32_e32 v31, v31, v33
	v_cmp_lt_u32_e32 vcc, 3, v32
	s_nop 0
	;; [unrolled: 5-line block ×3, first 2 shown]
	v_mov_b32_dpp v33, v31 row_shr:8 row_mask:0xf bank_mask:0xf
	v_cndmask_b32_e32 v32, 0, v33, vcc
	v_add_u32_e32 v31, v31, v32
	v_bfe_i32 v33, v30, 4, 1
	v_cmp_lt_u32_e32 vcc, 31, v30
	v_mov_b32_dpp v32, v31 row_bcast:15 row_mask:0xf bank_mask:0xf
	v_and_b32_e32 v32, v33, v32
	v_add_u32_e32 v31, v31, v32
	v_and_b32_e32 v33, 64, v30
	s_nop 0
	v_mov_b32_dpp v32, v31 row_bcast:31 row_mask:0xf bank_mask:0xf
	v_cndmask_b32_e32 v32, 0, v32, vcc
	v_add_u32_e32 v31, v31, v32
	v_add_u32_e32 v32, -1, v30
	v_cmp_lt_i32_e32 vcc, v32, v33
	v_cndmask_b32_e32 v30, v32, v30, vcc
	v_lshlrev_b32_e32 v30, 2, v30
	ds_bpermute_b32 v30, v30, v31
	s_waitcnt lgkmcnt(0)
	v_add_u32_e32 v14, v30, v14
	v_cndmask_b32_e64 v13, v14, v13, s[22:23]
	v_add_u32_e32 v14, v13, v15
	ds_write2_b32 v25, v13, v14 offset1:1
	v_add_u32_e32 v13, v14, v16
	v_add_u32_e32 v14, v13, v17
	ds_write2_b32 v25, v13, v14 offset0:2 offset1:3
	v_add_u32_e32 v13, v14, v18
	v_add_u32_e32 v14, v13, v19
	ds_write2_b32 v25, v13, v14 offset0:4 offset1:5
	;; [unrolled: 3-line block ×3, first 2 shown]
.LBB7_90:
	s_or_b64 exec, exec, s[24:25]
	v_mov_b32_e32 v13, 0
	v_mov_b32_e32 v14, 0
	s_waitcnt lgkmcnt(0)
	s_barrier
	s_and_saveexec_b64 s[24:25], s[6:7]
	s_cbranch_execz .LBB7_92
; %bb.91:
	ds_read_b32 v14, v26
.LBB7_92:
	s_or_b64 exec, exec, s[24:25]
	ds_read_b32 v15, v13 offset:35160
	s_waitcnt lgkmcnt(1)
	v_add_u32_e32 v14, v14, v12
	v_cmp_lt_i32_e32 vcc, v14, v9
	ds_write_b32 v11, v14 offset:6144
	s_waitcnt lgkmcnt(0)
	s_barrier
	s_and_saveexec_b64 s[24:25], vcc
	s_cbranch_execz .LBB7_98
; %bb.93:
	v_add_u32_e32 v12, v15, v12
	s_and_saveexec_b64 s[26:27], s[12:13]
	s_cbranch_execz .LBB7_95
; %bb.94:
	ds_read_b32 v12, v11 offset:6148
.LBB7_95:
	s_or_b64 exec, exec, s[26:27]
	s_waitcnt lgkmcnt(0)
	v_cmp_ge_i32_e32 vcc, v12, v9
	v_mov_b32_e32 v13, 0
	s_and_saveexec_b64 s[26:27], vcc
	s_cbranch_execz .LBB7_97
; %bb.96:
	s_mov_b32 s28, 0xc000
	v_add_u32_e32 v13, 0x600, v20
	v_sub_u32_e32 v12, v12, v14
	v_add_u32_e64 v14, s28, 0
	ds_write2_b32 v14, v12, v13 offset0:73 offset1:75
	v_mov_b32_e32 v13, 1
.LBB7_97:
	s_or_b64 exec, exec, s[26:27]
.LBB7_98:
	s_or_b64 exec, exec, s[24:25]
	v_or_b32_dpp v12, v13, v13 row_shl:1 row_mask:0xf bank_mask:0xf bound_ctrl:1
	s_and_b64 vcc, exec, s[8:9]
	s_nop 0
	v_or_b32_dpp v12, v12, v12 row_shl:2 row_mask:0xf bank_mask:0xf bound_ctrl:1
	s_nop 1
	v_or_b32_dpp v12, v12, v12 row_shl:4 row_mask:0xf bank_mask:0xf bound_ctrl:1
	;; [unrolled: 2-line block ×3, first 2 shown]
	s_nop 1
	v_mov_b32_dpp v13, v12 wave_shl:1 row_mask:0xf bank_mask:0xf bound_ctrl:1
	s_nop 1
	v_or_b32_dpp v12, v13, v12 row_mirror row_mask:0xf bank_mask:0xf bound_ctrl:1
	v_readlane_b32 s24, v12, 32
	v_readlane_b32 s8, v12, 0
	s_cbranch_vccnz .LBB7_105
; %bb.99:
	v_mbcnt_lo_u32_b32 v12, -1, 0
	s_bitcmp1_b32 exec_hi, 0
	v_mbcnt_hi_u32_b32 v12, -1, v12
	s_cselect_b32 s9, s24, 0
	v_or_b32_e32 v13, v12, v28
	s_or_b32 s24, s9, s8
	v_cmp_eq_u32_e32 vcc, 0, v13
	s_and_saveexec_b64 s[8:9], vcc
	s_cbranch_execz .LBB7_101
; %bb.100:
	v_mov_b32_e32 v13, 0
	v_mov_b32_e32 v14, s24
	ds_write_b32 v13, v14 offset:32768
.LBB7_101:
	s_or_b64 exec, exec, s[8:9]
	v_cmp_eq_u32_e32 vcc, 0, v12
	s_and_b64 s[26:27], s[14:15], vcc
	s_waitcnt lgkmcnt(0)
	s_barrier
	s_and_saveexec_b64 s[8:9], s[26:27]
	s_cbranch_execz .LBB7_104
; %bb.102:
	v_mbcnt_lo_u32_b32 v12, exec_lo, 0
	v_mbcnt_hi_u32_b32 v12, exec_hi, v12
	v_cmp_eq_u32_e32 vcc, 0, v12
	s_and_b64 exec, exec, vcc
	s_cbranch_execz .LBB7_104
; %bb.103:
	v_mov_b32_e32 v12, 0
	v_mov_b32_e32 v13, s24
	ds_or_b32 v12, v13 offset:32768
.LBB7_104:
	s_or_b64 exec, exec, s[8:9]
	v_mov_b32_e32 v12, 0
	s_waitcnt lgkmcnt(0)
	s_barrier
	ds_read_b32 v12, v12 offset:32768
	s_waitcnt lgkmcnt(0)
	s_barrier
.LBB7_105:
	v_mov_b32_e32 v12, 0
	s_waitcnt lgkmcnt(0)
	s_barrier
	ds_read_b32 v30, v12 offset:49452
	s_and_saveexec_b64 s[8:9], s[4:5]
	s_xor_b64 s[8:9], exec, s[8:9]
	s_cbranch_execz .LBB7_118
; %bb.106:
	v_add_u32_e32 v14, v20, v2
	v_cmp_lt_i32_e32 vcc, v14, v10
	s_and_saveexec_b64 s[24:25], vcc
	s_cbranch_execz .LBB7_117
; %bb.107:
	v_mov_b32_e32 v15, 0
	ds_read_b32 v12, v15 offset:49444
	v_lshl_add_u32 v16, v2, 1, v20
	v_lshlrev_b32_e32 v17, 9, v8
	s_waitcnt lgkmcnt(0)
	v_readfirstlane_b32 s26, v12
	s_cmpk_lt_i32 s26, 0x801
	s_cselect_b64 s[26:27], -1, 0
	s_ashr_i32 s51, s50, 31
	s_getpc_b64 s[28:29]
	s_add_u32 s28, s28, llvm.amdgcn.dynlds.offset.table@rel32@lo+4
	s_addc_u32 s29, s29, llvm.amdgcn.dynlds.offset.table@rel32@hi+12
	s_lshl_b64 vcc, s[50:51], 2
	s_add_u32 s28, vcc_lo, s28
	s_addc_u32 s29, vcc_hi, s29
	s_load_dword s38, s[28:29], 0x0
	v_mul_lo_u32 v12, v8, v14
	s_mov_b64 s[28:29], 0
	s_waitcnt lgkmcnt(0)
	v_lshl_add_u32 v18, v9, 2, s38
	s_branch .LBB7_110
.LBB7_108:                              ;   in Loop: Header=BB7_110 Depth=1
	s_or_b64 exec, exec, s[34:35]
	s_waitcnt lgkmcnt(0)
	v_readfirstlane_b32 vcc_lo, v22
	v_add_lshl_u32 v19, vcc_lo, v19, 2
	v_add_u32_e32 v19, 32, v19
	ds_write2st64_b32 v19, v16, v13 offset0:129 offset1:161
.LBB7_109:                              ;   in Loop: Header=BB7_110 Depth=1
	s_or_b64 exec, exec, s[30:31]
	v_add_u32_e32 v14, 0x200, v14
	v_cmp_ge_i32_e32 vcc, v14, v10
	v_add_u32_e32 v16, 0x200, v16
	s_or_b64 s[28:29], vcc, s[28:29]
	v_add_u32_e32 v12, v12, v17
	s_andn2_b64 exec, exec, s[28:29]
	s_cbranch_execz .LBB7_117
.LBB7_110:                              ; =>This Inner Loop Header: Depth=1
	v_ashrrev_i32_e32 v13, 31, v12
	v_lshlrev_b64 v[22:23], 2, v[12:13]
	v_add_co_u32_e32 v22, vcc, v0, v22
	v_addc_co_u32_e32 v23, vcc, v1, v23, vcc
	flat_load_dword v13, v[22:23]
	s_waitcnt vmcnt(0) lgkmcnt(0)
	v_cvt_f16_f32_e32 v19, v13
	v_xor_b32_e32 v22, -1, v19
	v_and_b32_e32 v22, 0x7fe0, v22
	v_cmp_gt_i16_e32 vcc, 0, v19
	v_cndmask_b32_e32 v19, v22, v19, vcc
	v_lshrrev_b16_e32 v19, 5, v19
	v_cmp_gt_u32_e32 vcc, v30, v19
	s_and_b64 vcc, vcc, s[26:27]
	s_and_saveexec_b64 s[30:31], vcc
	s_cbranch_execz .LBB7_114
; %bb.111:                              ;   in Loop: Header=BB7_110 Depth=1
	s_mov_b64 s[36:37], exec
	v_mbcnt_lo_u32_b32 v22, s36, 0
	v_mbcnt_hi_u32_b32 v22, s37, v22
	v_cmp_eq_u32_e32 vcc, 0, v22
                                        ; implicit-def: $vgpr23
	s_and_saveexec_b64 s[34:35], vcc
	s_cbranch_execz .LBB7_113
; %bb.112:                              ;   in Loop: Header=BB7_110 Depth=1
	s_bcnt1_i32_b64 vcc_lo, s[36:37]
	v_mov_b32_e32 v23, vcc_lo
	ds_add_rtn_u32 v23, v15, v23 offset:49448
.LBB7_113:                              ;   in Loop: Header=BB7_110 Depth=1
	s_or_b64 exec, exec, s[34:35]
	s_waitcnt lgkmcnt(0)
	v_readfirstlane_b32 vcc_lo, v23
	v_add_lshl_u32 v22, vcc_lo, v22, 2
	v_add_u32_e32 v23, s38, v22
	v_add_u32_e32 v22, v18, v22
	ds_write_b32 v23, v16
	ds_write_b32 v22, v13
.LBB7_114:                              ;   in Loop: Header=BB7_110 Depth=1
	s_or_b64 exec, exec, s[30:31]
	v_cmp_eq_u32_e32 vcc, v30, v19
	s_and_b64 vcc, vcc, s[26:27]
	s_and_saveexec_b64 s[30:31], vcc
	s_cbranch_execz .LBB7_109
; %bb.115:                              ;   in Loop: Header=BB7_110 Depth=1
	s_mov_b64 s[36:37], exec
	v_mbcnt_lo_u32_b32 v19, s36, 0
	v_mbcnt_hi_u32_b32 v19, s37, v19
	v_cmp_eq_u32_e32 vcc, 0, v19
                                        ; implicit-def: $vgpr22
	s_and_saveexec_b64 s[34:35], vcc
	s_cbranch_execz .LBB7_108
; %bb.116:                              ;   in Loop: Header=BB7_110 Depth=1
	s_bcnt1_i32_b64 vcc_lo, s[36:37]
	v_mov_b32_e32 v22, vcc_lo
	ds_add_rtn_u32 v22, v15, v22 offset:49440
	s_branch .LBB7_108
.LBB7_117:
	s_or_b64 exec, exec, s[24:25]
.LBB7_118:
	s_andn2_saveexec_b64 s[24:25], s[8:9]
	s_cbranch_execz .LBB7_173
; %bb.119:
	v_lshlrev_b64 v[12:13], 2, v[2:3]
	v_add_co_u32_e32 v31, vcc, v0, v12
	v_and_b32_e32 v18, 15, v31
	v_mov_b32_e32 v19, 0
	v_addc_co_u32_e32 v32, vcc, v1, v13, vcc
	v_sub_u32_e32 v14, 16, v18
	v_lshrrev_b32_e32 v14, 2, v14
	v_cmp_ne_u64_e32 vcc, 0, v[18:19]
	v_cndmask_b32_e32 v14, 0, v14, vcc
	v_min_i32_e32 v16, v14, v24
	v_sub_u32_e32 v14, v24, v16
	v_ashrrev_i32_e32 v15, 31, v14
	v_lshrrev_b32_e32 v15, 30, v15
	v_add_u32_e32 v14, v14, v15
	v_ashrrev_i32_e32 v18, 2, v14
	s_mov_b64 s[26:27], 0
	v_ashrrev_i32_e32 v17, 31, v16
	v_cmp_gt_i32_e32 vcc, v18, v20
	s_and_saveexec_b64 s[28:29], vcc
	s_cbranch_execz .LBB7_154
; %bb.120:
	ds_read_b32 v14, v19 offset:49444
	v_lshlrev_b32_e32 v22, 4, v20
	v_add3_u32 v33, v2, v16, v21
	v_mov_b32_e32 v34, v20
	s_waitcnt lgkmcnt(0)
	v_readfirstlane_b32 s34, v14
	s_cmpk_lt_i32 s34, 0x801
	s_cselect_b64 s[30:31], -1, 0
	s_ashr_i32 s51, s50, 31
	s_getpc_b64 s[8:9]
	s_add_u32 s8, s8, llvm.amdgcn.dynlds.offset.table@rel32@lo+4
	s_addc_u32 s9, s9, llvm.amdgcn.dynlds.offset.table@rel32@hi+12
	s_lshl_b64 vcc, s[50:51], 2
	s_add_u32 s8, vcc_lo, s8
	s_addc_u32 s9, vcc_hi, s9
	v_lshlrev_b64 v[14:15], 2, v[16:17]
	s_load_dword s40, s[8:9], 0x0
	v_add_co_u32_e32 v14, vcc, v22, v14
	v_addc_co_u32_e32 v15, vcc, 0, v15, vcc
	v_add_co_u32_e32 v12, vcc, v14, v12
	s_cmpk_gt_i32 s34, 0x800
	v_addc_co_u32_e32 v13, vcc, v15, v13, vcc
	s_cselect_b64 s[8:9], -1, 0
	v_add_co_u32_e32 v22, vcc, v0, v12
	s_waitcnt lgkmcnt(0)
	v_lshl_add_u32 v17, v9, 2, s40
	v_addc_co_u32_e32 v23, vcc, v1, v13, vcc
	v_mov_b32_e32 v35, s40
	s_xor_b64 s[34:35], s[8:9], -1
	s_branch .LBB7_123
.LBB7_121:                              ;   in Loop: Header=BB7_123 Depth=1
	s_or_b64 exec, exec, s[36:37]
	s_waitcnt lgkmcnt(0)
	v_readfirstlane_b32 vcc_lo, v13
	v_add_lshl_u32 v12, vcc_lo, v12, 2
	v_add_u32_e32 v13, 3, v33
	v_add_u32_e32 v12, 32, v12
	ds_write2st64_b32 v12, v13, v15 offset0:129 offset1:161
.LBB7_122:                              ;   in Loop: Header=BB7_123 Depth=1
	s_or_b64 exec, exec, s[8:9]
	v_add_u32_e32 v34, 0x200, v34
	v_add_co_u32_e32 v22, vcc, 0x2000, v22
	v_cmp_ge_i32_e64 s[8:9], v34, v18
	v_add_u32_e32 v33, 0x800, v33
	s_or_b64 s[26:27], s[8:9], s[26:27]
	v_addc_co_u32_e32 v23, vcc, 0, v23, vcc
	s_andn2_b64 exec, exec, s[26:27]
	s_cbranch_execz .LBB7_154
.LBB7_123:                              ; =>This Inner Loop Header: Depth=1
	flat_load_dwordx4 v[12:15], v[22:23]
	s_waitcnt vmcnt(0) lgkmcnt(0)
	v_cvt_f16_f32_e32 v36, v12
	v_xor_b32_e32 v37, -1, v36
	v_and_b32_e32 v37, 0x7fe0, v37
	v_cmp_gt_i16_e32 vcc, 0, v36
	v_cndmask_b32_e32 v36, v37, v36, vcc
	v_lshrrev_b16_e32 v36, 5, v36
	v_cmp_gt_u32_e32 vcc, v30, v36
	s_and_b64 vcc, vcc, s[30:31]
	s_and_saveexec_b64 s[8:9], vcc
	s_cbranch_execz .LBB7_127
; %bb.124:                              ;   in Loop: Header=BB7_123 Depth=1
	s_mov_b64 s[38:39], exec
	v_mbcnt_lo_u32_b32 v37, s38, 0
	v_mbcnt_hi_u32_b32 v37, s39, v37
	v_cmp_eq_u32_e32 vcc, 0, v37
                                        ; implicit-def: $vgpr38
	s_and_saveexec_b64 s[36:37], vcc
	s_cbranch_execz .LBB7_126
; %bb.125:                              ;   in Loop: Header=BB7_123 Depth=1
	s_bcnt1_i32_b64 vcc_lo, s[38:39]
	v_mov_b32_e32 v38, vcc_lo
	ds_add_rtn_u32 v38, v19, v38 offset:49448
.LBB7_126:                              ;   in Loop: Header=BB7_123 Depth=1
	s_or_b64 exec, exec, s[36:37]
	s_waitcnt lgkmcnt(0)
	v_readfirstlane_b32 vcc_lo, v38
	v_add_lshl_u32 v37, vcc_lo, v37, 2
	v_add_u32_e32 v38, v35, v37
	v_add_u32_e32 v37, v17, v37
	ds_write_b32 v38, v33
	ds_write_b32 v37, v12
.LBB7_127:                              ;   in Loop: Header=BB7_123 Depth=1
	s_or_b64 exec, exec, s[8:9]
	v_cmp_eq_u32_e32 vcc, v30, v36
	s_and_b64 vcc, vcc, s[34:35]
	s_and_saveexec_b64 s[8:9], vcc
	s_cbranch_execz .LBB7_131
; %bb.128:                              ;   in Loop: Header=BB7_123 Depth=1
	s_mov_b64 s[38:39], exec
	v_mbcnt_lo_u32_b32 v36, s38, 0
	v_mbcnt_hi_u32_b32 v36, s39, v36
	v_cmp_eq_u32_e32 vcc, 0, v36
                                        ; implicit-def: $vgpr37
	s_and_saveexec_b64 s[36:37], vcc
	s_cbranch_execz .LBB7_130
; %bb.129:                              ;   in Loop: Header=BB7_123 Depth=1
	s_bcnt1_i32_b64 vcc_lo, s[38:39]
	v_mov_b32_e32 v37, vcc_lo
	ds_add_rtn_u32 v37, v19, v37 offset:49440
.LBB7_130:                              ;   in Loop: Header=BB7_123 Depth=1
	s_or_b64 exec, exec, s[36:37]
	s_waitcnt lgkmcnt(0)
	v_readfirstlane_b32 vcc_lo, v37
	v_add_lshl_u32 v36, vcc_lo, v36, 2
	v_add_u32_e32 v36, 32, v36
	ds_write2st64_b32 v36, v33, v12 offset0:129 offset1:161
.LBB7_131:                              ;   in Loop: Header=BB7_123 Depth=1
	s_or_b64 exec, exec, s[8:9]
	v_cvt_f16_f32_e32 v12, v13
	v_xor_b32_e32 v36, -1, v12
	v_and_b32_e32 v36, 0x7fe0, v36
	v_cmp_gt_i16_e32 vcc, 0, v12
	v_cndmask_b32_e32 v12, v36, v12, vcc
	v_lshrrev_b16_e32 v12, 5, v12
	v_cmp_gt_u32_e32 vcc, v30, v12
	s_and_b64 vcc, vcc, s[30:31]
	s_and_saveexec_b64 s[8:9], vcc
	s_cbranch_execz .LBB7_135
; %bb.132:                              ;   in Loop: Header=BB7_123 Depth=1
	s_mov_b64 s[38:39], exec
	v_mbcnt_lo_u32_b32 v36, s38, 0
	v_mbcnt_hi_u32_b32 v36, s39, v36
	v_cmp_eq_u32_e32 vcc, 0, v36
                                        ; implicit-def: $vgpr37
	s_and_saveexec_b64 s[36:37], vcc
	s_cbranch_execz .LBB7_134
; %bb.133:                              ;   in Loop: Header=BB7_123 Depth=1
	s_bcnt1_i32_b64 vcc_lo, s[38:39]
	v_mov_b32_e32 v37, vcc_lo
	ds_add_rtn_u32 v37, v19, v37 offset:49448
.LBB7_134:                              ;   in Loop: Header=BB7_123 Depth=1
	s_or_b64 exec, exec, s[36:37]
	s_waitcnt lgkmcnt(0)
	v_readfirstlane_b32 vcc_lo, v37
	v_add_lshl_u32 v36, vcc_lo, v36, 2
	v_add_u32_e32 v37, 1, v33
	v_add_u32_e32 v38, v35, v36
	;; [unrolled: 1-line block ×3, first 2 shown]
	ds_write_b32 v38, v37
	ds_write_b32 v36, v13
.LBB7_135:                              ;   in Loop: Header=BB7_123 Depth=1
	s_or_b64 exec, exec, s[8:9]
	v_cmp_eq_u32_e32 vcc, v30, v12
	s_and_b64 vcc, vcc, s[34:35]
	s_and_saveexec_b64 s[8:9], vcc
	s_cbranch_execz .LBB7_139
; %bb.136:                              ;   in Loop: Header=BB7_123 Depth=1
	s_mov_b64 s[38:39], exec
	v_mbcnt_lo_u32_b32 v12, s38, 0
	v_mbcnt_hi_u32_b32 v12, s39, v12
	v_cmp_eq_u32_e32 vcc, 0, v12
                                        ; implicit-def: $vgpr36
	s_and_saveexec_b64 s[36:37], vcc
	s_cbranch_execz .LBB7_138
; %bb.137:                              ;   in Loop: Header=BB7_123 Depth=1
	s_bcnt1_i32_b64 vcc_lo, s[38:39]
	v_mov_b32_e32 v36, vcc_lo
	ds_add_rtn_u32 v36, v19, v36 offset:49440
.LBB7_138:                              ;   in Loop: Header=BB7_123 Depth=1
	s_or_b64 exec, exec, s[36:37]
	s_waitcnt lgkmcnt(0)
	v_readfirstlane_b32 vcc_lo, v36
	v_add_lshl_u32 v12, vcc_lo, v12, 2
	v_add_u32_e32 v36, 1, v33
	v_add_u32_e32 v12, 32, v12
	ds_write2st64_b32 v12, v36, v13 offset0:129 offset1:161
.LBB7_139:                              ;   in Loop: Header=BB7_123 Depth=1
	s_or_b64 exec, exec, s[8:9]
	v_cvt_f16_f32_e32 v12, v14
	v_xor_b32_e32 v13, -1, v12
	v_and_b32_e32 v13, 0x7fe0, v13
	v_cmp_gt_i16_e32 vcc, 0, v12
	v_cndmask_b32_e32 v12, v13, v12, vcc
	v_lshrrev_b16_e32 v12, 5, v12
	v_cmp_gt_u32_e32 vcc, v30, v12
	s_and_b64 vcc, vcc, s[30:31]
	s_and_saveexec_b64 s[8:9], vcc
	s_cbranch_execz .LBB7_143
; %bb.140:                              ;   in Loop: Header=BB7_123 Depth=1
	s_mov_b64 s[38:39], exec
	v_mbcnt_lo_u32_b32 v13, s38, 0
	v_mbcnt_hi_u32_b32 v13, s39, v13
	v_cmp_eq_u32_e32 vcc, 0, v13
                                        ; implicit-def: $vgpr36
	s_and_saveexec_b64 s[36:37], vcc
	s_cbranch_execz .LBB7_142
; %bb.141:                              ;   in Loop: Header=BB7_123 Depth=1
	s_bcnt1_i32_b64 vcc_lo, s[38:39]
	v_mov_b32_e32 v36, vcc_lo
	ds_add_rtn_u32 v36, v19, v36 offset:49448
.LBB7_142:                              ;   in Loop: Header=BB7_123 Depth=1
	s_or_b64 exec, exec, s[36:37]
	s_waitcnt lgkmcnt(0)
	v_readfirstlane_b32 vcc_lo, v36
	v_add_lshl_u32 v13, vcc_lo, v13, 2
	v_add_u32_e32 v36, 2, v33
	v_add_u32_e32 v37, v35, v13
	;; [unrolled: 1-line block ×3, first 2 shown]
	ds_write_b32 v37, v36
	ds_write_b32 v13, v14
.LBB7_143:                              ;   in Loop: Header=BB7_123 Depth=1
	s_or_b64 exec, exec, s[8:9]
	v_cmp_eq_u32_e32 vcc, v30, v12
	s_and_b64 vcc, vcc, s[34:35]
	s_and_saveexec_b64 s[8:9], vcc
	s_cbranch_execz .LBB7_147
; %bb.144:                              ;   in Loop: Header=BB7_123 Depth=1
	s_mov_b64 s[38:39], exec
	v_mbcnt_lo_u32_b32 v12, s38, 0
	v_mbcnt_hi_u32_b32 v12, s39, v12
	v_cmp_eq_u32_e32 vcc, 0, v12
                                        ; implicit-def: $vgpr13
	s_and_saveexec_b64 s[36:37], vcc
	s_cbranch_execz .LBB7_146
; %bb.145:                              ;   in Loop: Header=BB7_123 Depth=1
	s_bcnt1_i32_b64 vcc_lo, s[38:39]
	v_mov_b32_e32 v13, vcc_lo
	ds_add_rtn_u32 v13, v19, v13 offset:49440
.LBB7_146:                              ;   in Loop: Header=BB7_123 Depth=1
	s_or_b64 exec, exec, s[36:37]
	s_waitcnt lgkmcnt(0)
	v_readfirstlane_b32 vcc_lo, v13
	v_add_lshl_u32 v12, vcc_lo, v12, 2
	v_add_u32_e32 v13, 2, v33
	v_add_u32_e32 v12, 32, v12
	ds_write2st64_b32 v12, v13, v14 offset0:129 offset1:161
.LBB7_147:                              ;   in Loop: Header=BB7_123 Depth=1
	s_or_b64 exec, exec, s[8:9]
	v_cvt_f16_f32_e32 v12, v15
	v_xor_b32_e32 v13, -1, v12
	v_and_b32_e32 v13, 0x7fe0, v13
	v_cmp_gt_i16_e32 vcc, 0, v12
	v_cndmask_b32_e32 v12, v13, v12, vcc
	v_lshrrev_b16_e32 v12, 5, v12
	v_cmp_gt_u32_e32 vcc, v30, v12
	s_and_b64 vcc, vcc, s[30:31]
	s_and_saveexec_b64 s[8:9], vcc
	s_cbranch_execz .LBB7_151
; %bb.148:                              ;   in Loop: Header=BB7_123 Depth=1
	s_mov_b64 s[38:39], exec
	v_mbcnt_lo_u32_b32 v13, s38, 0
	v_mbcnt_hi_u32_b32 v13, s39, v13
	v_cmp_eq_u32_e32 vcc, 0, v13
                                        ; implicit-def: $vgpr14
	s_and_saveexec_b64 s[36:37], vcc
	s_cbranch_execz .LBB7_150
; %bb.149:                              ;   in Loop: Header=BB7_123 Depth=1
	s_bcnt1_i32_b64 vcc_lo, s[38:39]
	v_mov_b32_e32 v14, vcc_lo
	ds_add_rtn_u32 v14, v19, v14 offset:49448
.LBB7_150:                              ;   in Loop: Header=BB7_123 Depth=1
	s_or_b64 exec, exec, s[36:37]
	s_waitcnt lgkmcnt(0)
	v_readfirstlane_b32 vcc_lo, v14
	v_add_lshl_u32 v13, vcc_lo, v13, 2
	v_add_u32_e32 v14, 3, v33
	v_add_u32_e32 v35, s40, v13
	ds_write_b32 v35, v14
	v_add_u32_e32 v13, v17, v13
	v_mov_b32_e32 v35, s40
	ds_write_b32 v13, v15
.LBB7_151:                              ;   in Loop: Header=BB7_123 Depth=1
	s_or_b64 exec, exec, s[8:9]
	v_cmp_eq_u32_e32 vcc, v30, v12
	s_and_b64 vcc, vcc, s[30:31]
	s_and_saveexec_b64 s[8:9], vcc
	s_cbranch_execz .LBB7_122
; %bb.152:                              ;   in Loop: Header=BB7_123 Depth=1
	s_mov_b64 s[38:39], exec
	v_mbcnt_lo_u32_b32 v12, s38, 0
	v_mbcnt_hi_u32_b32 v12, s39, v12
	v_cmp_eq_u32_e32 vcc, 0, v12
                                        ; implicit-def: $vgpr13
	s_and_saveexec_b64 s[36:37], vcc
	s_cbranch_execz .LBB7_121
; %bb.153:                              ;   in Loop: Header=BB7_123 Depth=1
	s_bcnt1_i32_b64 vcc_lo, s[38:39]
	v_mov_b32_e32 v13, vcc_lo
	ds_add_rtn_u32 v13, v19, v13 offset:49440
	s_branch .LBB7_121
.LBB7_154:
	s_or_b64 exec, exec, s[28:29]
	v_cmp_gt_u32_e32 vcc, v16, v20
	s_and_saveexec_b64 s[8:9], vcc
	s_cbranch_execz .LBB7_163
; %bb.155:
	v_add_co_u32_e32 v12, vcc, v31, v21
	v_addc_co_u32_e32 v13, vcc, 0, v32, vcc
	flat_load_dword v12, v[12:13]
	v_mov_b32_e32 v13, 0
	ds_read_b32 v13, v13 offset:49444
	s_waitcnt lgkmcnt(0)
	v_readfirstlane_b32 s26, v13
	s_cmpk_lt_i32 s26, 0x801
	s_cselect_b64 s[26:27], -1, 0
	s_waitcnt vmcnt(0)
	v_cvt_f16_f32_e32 v14, v12
	v_xor_b32_e32 v13, -1, v14
	v_and_b32_e32 v13, 0x7fe0, v13
	v_cmp_gt_i16_e32 vcc, 0, v14
	v_cndmask_b32_e32 v13, v13, v14, vcc
	v_lshrrev_b16_e32 v13, 5, v13
	v_cmp_gt_u32_e32 vcc, v30, v13
	s_and_b64 vcc, vcc, s[26:27]
	s_and_saveexec_b64 s[28:29], vcc
	s_cbranch_execz .LBB7_159
; %bb.156:
	s_mov_b64 s[34:35], exec
	v_mbcnt_lo_u32_b32 v14, s34, 0
	v_mbcnt_hi_u32_b32 v14, s35, v14
	v_cmp_eq_u32_e32 vcc, 0, v14
                                        ; implicit-def: $vgpr15
	s_and_saveexec_b64 s[30:31], vcc
	s_cbranch_execz .LBB7_158
; %bb.157:
	s_bcnt1_i32_b64 vcc_lo, s[34:35]
	v_mov_b32_e32 v15, 0
	v_mov_b32_e32 v17, vcc_lo
	ds_add_rtn_u32 v15, v15, v17 offset:49448
.LBB7_158:
	s_or_b64 exec, exec, s[30:31]
	s_ashr_i32 s51, s50, 31
	s_lshl_b64 vcc, s[50:51], 2
	s_getpc_b64 s[30:31]
	s_add_u32 s30, s30, llvm.amdgcn.dynlds.offset.table@rel32@lo+4
	s_addc_u32 s31, s31, llvm.amdgcn.dynlds.offset.table@rel32@hi+12
	s_add_u32 vcc_lo, vcc_lo, s30
	s_addc_u32 vcc_hi, vcc_hi, s31
	s_load_dword vcc_lo, vcc, 0x0
	s_waitcnt lgkmcnt(0)
	v_readfirstlane_b32 vcc_hi, v15
	v_add_u32_e32 v14, vcc_hi, v14
	v_add_u32_e32 v15, v20, v2
	v_lshl_add_u32 v14, v14, 2, vcc_lo
	ds_write_b32 v14, v15
	v_lshl_add_u32 v14, v9, 2, v14
	ds_write_b32 v14, v12
.LBB7_159:
	s_or_b64 exec, exec, s[28:29]
	v_cmp_eq_u32_e32 vcc, v30, v13
	s_and_b64 s[26:27], vcc, s[26:27]
	s_and_b64 exec, exec, s[26:27]
	s_cbranch_execz .LBB7_163
; %bb.160:
	s_mov_b64 s[28:29], exec
	v_mbcnt_lo_u32_b32 v13, s28, 0
	v_mbcnt_hi_u32_b32 v13, s29, v13
	v_cmp_eq_u32_e32 vcc, 0, v13
                                        ; implicit-def: $vgpr14
	s_and_saveexec_b64 s[26:27], vcc
	s_cbranch_execz .LBB7_162
; %bb.161:
	s_bcnt1_i32_b64 s28, s[28:29]
	v_mov_b32_e32 v14, 0
	v_mov_b32_e32 v15, s28
	ds_add_rtn_u32 v14, v14, v15 offset:49440
.LBB7_162:
	s_or_b64 exec, exec, s[26:27]
	s_waitcnt lgkmcnt(0)
	v_readfirstlane_b32 s26, v14
	v_add_lshl_u32 v13, s26, v13, 2
	v_add_u32_e32 v14, v20, v2
	v_add_u32_e32 v13, 32, v13
	ds_write2st64_b32 v13, v14, v12 offset0:129 offset1:161
.LBB7_163:
	s_or_b64 exec, exec, s[8:9]
	v_lshlrev_b32_e32 v12, 2, v18
	v_add3_u32 v12, v16, v20, v12
	v_cmp_lt_i32_e32 vcc, v12, v24
	s_and_saveexec_b64 s[8:9], vcc
	s_cbranch_execz .LBB7_172
; %bb.164:
	v_ashrrev_i32_e32 v13, 31, v12
	v_lshlrev_b64 v[14:15], 2, v[12:13]
	v_add_co_u32_e32 v14, vcc, v31, v14
	v_addc_co_u32_e32 v15, vcc, v32, v15, vcc
	flat_load_dword v13, v[14:15]
	v_mov_b32_e32 v14, 0
	ds_read_b32 v14, v14 offset:49444
	s_waitcnt lgkmcnt(0)
	v_readfirstlane_b32 s26, v14
	s_cmpk_lt_i32 s26, 0x801
	s_cselect_b64 s[26:27], -1, 0
	s_waitcnt vmcnt(0)
	v_cvt_f16_f32_e32 v15, v13
	v_xor_b32_e32 v14, -1, v15
	v_and_b32_e32 v14, 0x7fe0, v14
	v_cmp_gt_i16_e32 vcc, 0, v15
	v_cndmask_b32_e32 v14, v14, v15, vcc
	v_lshrrev_b16_e32 v14, 5, v14
	v_cmp_gt_u32_e32 vcc, v30, v14
	s_and_b64 vcc, vcc, s[26:27]
	s_and_saveexec_b64 s[28:29], vcc
	s_cbranch_execz .LBB7_168
; %bb.165:
	s_mov_b64 s[34:35], exec
	v_mbcnt_lo_u32_b32 v15, s34, 0
	v_mbcnt_hi_u32_b32 v15, s35, v15
	v_cmp_eq_u32_e32 vcc, 0, v15
                                        ; implicit-def: $vgpr16
	s_and_saveexec_b64 s[30:31], vcc
	s_cbranch_execz .LBB7_167
; %bb.166:
	s_bcnt1_i32_b64 vcc_lo, s[34:35]
	v_mov_b32_e32 v16, 0
	v_mov_b32_e32 v17, vcc_lo
	ds_add_rtn_u32 v16, v16, v17 offset:49448
.LBB7_167:
	s_or_b64 exec, exec, s[30:31]
	s_ashr_i32 s51, s50, 31
	s_lshl_b64 vcc, s[50:51], 2
	s_getpc_b64 s[30:31]
	s_add_u32 s30, s30, llvm.amdgcn.dynlds.offset.table@rel32@lo+4
	s_addc_u32 s31, s31, llvm.amdgcn.dynlds.offset.table@rel32@hi+12
	s_add_u32 vcc_lo, vcc_lo, s30
	s_addc_u32 vcc_hi, vcc_hi, s31
	s_load_dword vcc_lo, vcc, 0x0
	s_waitcnt lgkmcnt(0)
	v_readfirstlane_b32 vcc_hi, v16
	v_add_u32_e32 v15, vcc_hi, v15
	v_add_u32_e32 v16, v12, v2
	v_lshl_add_u32 v15, v15, 2, vcc_lo
	ds_write_b32 v15, v16
	v_lshl_add_u32 v15, v9, 2, v15
	ds_write_b32 v15, v13
.LBB7_168:
	s_or_b64 exec, exec, s[28:29]
	v_cmp_eq_u32_e32 vcc, v30, v14
	s_and_b64 s[26:27], vcc, s[26:27]
	s_and_b64 exec, exec, s[26:27]
	s_cbranch_execz .LBB7_172
; %bb.169:
	s_mov_b64 s[28:29], exec
	v_mbcnt_lo_u32_b32 v14, s28, 0
	v_mbcnt_hi_u32_b32 v14, s29, v14
	v_cmp_eq_u32_e32 vcc, 0, v14
                                        ; implicit-def: $vgpr15
	s_and_saveexec_b64 s[26:27], vcc
	s_cbranch_execz .LBB7_171
; %bb.170:
	s_bcnt1_i32_b64 s28, s[28:29]
	v_mov_b32_e32 v15, 0
	v_mov_b32_e32 v16, s28
	ds_add_rtn_u32 v15, v15, v16 offset:49440
.LBB7_171:
	s_or_b64 exec, exec, s[26:27]
	s_waitcnt lgkmcnt(0)
	v_readfirstlane_b32 s26, v15
	v_add_lshl_u32 v14, s26, v14, 2
	v_add_u32_e32 v12, v12, v2
	v_add_u32_e32 v14, 32, v14
	ds_write2st64_b32 v14, v12, v13 offset0:129 offset1:161
.LBB7_172:
	s_or_b64 exec, exec, s[8:9]
.LBB7_173:
	s_or_b64 exec, exec, s[24:25]
	v_mov_b32_e32 v12, 0
	s_waitcnt lgkmcnt(0)
	s_barrier
	ds_read_b32 v13, v12 offset:49444
	s_movk_i32 s8, 0x801
	s_waitcnt lgkmcnt(0)
	v_cmp_gt_i32_e32 vcc, s8, v13
	s_mov_b64 s[8:9], 0
	s_cbranch_vccnz .LBB7_332
; %bb.174:
	ds_write_b32 v29, v12 offset:2112
	ds_write_b32 v11, v12 offset:2048
	s_and_saveexec_b64 s[8:9], s[18:19]
	s_cbranch_execz .LBB7_176
; %bb.175:
	v_mov_b32_e32 v12, 0
	ds_write_b32 v11, v12 offset:4096
.LBB7_176:
	s_or_b64 exec, exec, s[8:9]
	s_and_saveexec_b64 s[8:9], s[16:17]
	s_cbranch_execz .LBB7_178
; %bb.177:
	v_mov_b32_e32 v12, 0
	ds_write_b32 v11, v12 offset:6144
.LBB7_178:
	s_or_b64 exec, exec, s[8:9]
	s_waitcnt lgkmcnt(0)
	s_barrier
	s_and_saveexec_b64 s[8:9], s[4:5]
	s_xor_b64 s[8:9], exec, s[8:9]
	s_cbranch_execz .LBB7_183
; %bb.179:
	v_add_u32_e32 v14, v20, v2
	v_cmp_lt_i32_e32 vcc, v14, v10
	s_and_saveexec_b64 s[24:25], vcc
	s_cbranch_execz .LBB7_182
; %bb.180:
	v_mul_lo_u32 v12, v8, v14
	v_lshlrev_b32_e32 v15, 9, v8
	s_mov_b64 s[26:27], 0
	v_mov_b32_e32 v16, 1
.LBB7_181:                              ; =>This Inner Loop Header: Depth=1
	v_ashrrev_i32_e32 v13, 31, v12
	v_lshlrev_b64 v[18:19], 2, v[12:13]
	v_add_co_u32_e32 v18, vcc, v0, v18
	v_addc_co_u32_e32 v19, vcc, v1, v19, vcc
	flat_load_dword v13, v[18:19]
	v_add_u32_e32 v14, 0x200, v14
	v_add_u32_e32 v12, v12, v15
	s_waitcnt vmcnt(0) lgkmcnt(0)
	v_not_b32_e32 v17, v13
	v_and_b32_e32 v17, 0x7fe00000, v17
	v_cmp_gt_i32_e32 vcc, 0, v13
	v_cndmask_b32_e32 v13, v17, v13, vcc
	v_lshrrev_b32_e32 v13, 19, v13
	v_and_b32_e32 v13, 0x1ffc, v13
	ds_add_u32 v13, v16 offset:35168
	v_cmp_ge_i32_e32 vcc, v14, v10
	s_or_b64 s[26:27], vcc, s[26:27]
	s_andn2_b64 exec, exec, s[26:27]
	s_cbranch_execnz .LBB7_181
.LBB7_182:
	s_or_b64 exec, exec, s[24:25]
.LBB7_183:
	s_andn2_saveexec_b64 s[34:35], s[8:9]
	s_cbranch_execz .LBB7_192
; %bb.184:
	v_lshlrev_b64 v[14:15], 2, v[2:3]
	v_add_co_u32_e32 v16, vcc, v0, v14
	v_and_b32_e32 v12, 15, v16
	v_addc_co_u32_e32 v17, vcc, v1, v15, vcc
	v_mov_b32_e32 v13, 0
	v_sub_u32_e32 v18, 16, v12
	v_lshrrev_b32_e32 v18, 2, v18
	v_cmp_ne_u64_e32 vcc, 0, v[12:13]
	v_cndmask_b32_e32 v12, 0, v18, vcc
	v_min_i32_e32 v12, v12, v24
	v_sub_u32_e32 v18, v24, v12
	v_ashrrev_i32_e32 v19, 31, v18
	v_lshrrev_b32_e32 v19, 30, v19
	v_add_u32_e32 v18, v18, v19
	v_ashrrev_i32_e32 v18, 2, v18
	s_mov_b64 s[36:37], 0
	v_ashrrev_i32_e32 v13, 31, v12
	v_cmp_gt_i32_e32 vcc, v18, v20
	s_and_saveexec_b64 s[38:39], vcc
	s_cbranch_execz .LBB7_187
; %bb.185:
	v_lshlrev_b32_e32 v19, 4, v20
	v_lshlrev_b64 v[22:23], 2, v[12:13]
	v_add_co_u32_e32 v13, vcc, v19, v22
	v_addc_co_u32_e32 v19, vcc, 0, v23, vcc
	v_add_co_u32_e32 v13, vcc, v13, v14
	v_addc_co_u32_e32 v15, vcc, v19, v15, vcc
	;; [unrolled: 2-line block ×3, first 2 shown]
	v_mov_b32_e32 v13, 1
	v_mov_b32_e32 v19, v20
.LBB7_186:                              ; =>This Inner Loop Header: Depth=1
	flat_load_dwordx4 v[30:33], v[14:15]
	v_add_u32_e32 v19, 0x200, v19
	v_add_co_u32_e32 v14, vcc, 0x2000, v14
	v_cmp_ge_i32_e64 s[8:9], v19, v18
	s_or_b64 s[36:37], s[8:9], s[36:37]
	v_addc_co_u32_e32 v15, vcc, 0, v15, vcc
	s_waitcnt vmcnt(0) lgkmcnt(0)
	v_not_b32_e32 v22, v30
	v_not_b32_e32 v23, v31
	;; [unrolled: 1-line block ×4, first 2 shown]
	v_and_b32_e32 v22, 0x7fe00000, v22
	v_cmp_gt_i32_e64 s[30:31], 0, v30
	v_and_b32_e32 v23, 0x7fe00000, v23
	v_cmp_gt_i32_e64 s[24:25], 0, v31
	;; [unrolled: 2-line block ×4, first 2 shown]
	v_cndmask_b32_e64 v22, v22, v30, s[30:31]
	v_cndmask_b32_e64 v23, v23, v31, s[24:25]
	;; [unrolled: 1-line block ×4, first 2 shown]
	v_lshrrev_b32_e32 v22, 19, v22
	v_lshrrev_b32_e32 v23, 19, v23
	v_lshrrev_b32_e32 v30, 19, v30
	v_lshrrev_b32_e32 v31, 19, v31
	v_and_b32_e32 v22, 0x1ffc, v22
	v_and_b32_e32 v23, 0x1ffc, v23
	;; [unrolled: 1-line block ×4, first 2 shown]
	ds_add_u32 v22, v13 offset:35168
	ds_add_u32 v23, v13 offset:35168
	;; [unrolled: 1-line block ×4, first 2 shown]
	s_andn2_b64 exec, exec, s[36:37]
	s_cbranch_execnz .LBB7_186
.LBB7_187:
	s_or_b64 exec, exec, s[38:39]
	v_cmp_gt_u32_e32 vcc, v12, v20
	s_and_saveexec_b64 s[8:9], vcc
	s_cbranch_execz .LBB7_189
; %bb.188:
	v_add_co_u32_e32 v14, vcc, v16, v21
	v_addc_co_u32_e32 v15, vcc, 0, v17, vcc
	flat_load_dword v13, v[14:15]
	s_waitcnt vmcnt(0) lgkmcnt(0)
	v_not_b32_e32 v14, v13
	v_and_b32_e32 v14, 0x7fe00000, v14
	v_cmp_gt_i32_e32 vcc, 0, v13
	v_cndmask_b32_e32 v13, v14, v13, vcc
	v_lshrrev_b32_e32 v13, 19, v13
	v_and_b32_e32 v13, 0x1ffc, v13
	v_mov_b32_e32 v14, 1
	ds_add_u32 v13, v14 offset:35168
.LBB7_189:
	s_or_b64 exec, exec, s[8:9]
	v_lshlrev_b32_e32 v13, 2, v18
	v_add3_u32 v12, v12, v20, v13
	v_cmp_lt_i32_e32 vcc, v12, v24
	s_and_saveexec_b64 s[8:9], vcc
	s_cbranch_execz .LBB7_191
; %bb.190:
	v_ashrrev_i32_e32 v13, 31, v12
	v_lshlrev_b64 v[12:13], 2, v[12:13]
	v_add_co_u32_e32 v12, vcc, v16, v12
	v_addc_co_u32_e32 v13, vcc, v17, v13, vcc
	flat_load_dword v12, v[12:13]
	s_waitcnt vmcnt(0) lgkmcnt(0)
	v_not_b32_e32 v13, v12
	v_and_b32_e32 v13, 0x7fe00000, v13
	v_cmp_gt_i32_e32 vcc, 0, v12
	v_cndmask_b32_e32 v12, v13, v12, vcc
	v_lshrrev_b32_e32 v12, 19, v12
	v_and_b32_e32 v12, 0x1ffc, v12
	v_mov_b32_e32 v13, 1
	ds_add_u32 v12, v13 offset:35168
.LBB7_191:
	s_or_b64 exec, exec, s[8:9]
.LBB7_192:
	s_or_b64 exec, exec, s[34:35]
	s_waitcnt lgkmcnt(0)
	s_barrier
	v_mov_b32_e32 v13, 0
	ds_read_b32 v14, v29 offset:2112
	ds_read_b32 v12, v13 offset:49448
	s_waitcnt lgkmcnt(0)
	s_barrier
	ds_write_b32 v27, v14
	s_waitcnt lgkmcnt(0)
	s_barrier
	s_and_saveexec_b64 s[8:9], s[10:11]
	s_cbranch_execz .LBB7_194
; %bb.193:
	ds_read2_b32 v[16:17], v25 offset1:1
	ds_read2_b32 v[18:19], v25 offset0:2 offset1:3
	ds_read2_b32 v[22:23], v25 offset0:4 offset1:5
	;; [unrolled: 1-line block ×3, first 2 shown]
	v_mbcnt_lo_u32_b32 v15, -1, 0
	s_waitcnt lgkmcnt(3)
	v_add_u32_e32 v32, v17, v16
	s_waitcnt lgkmcnt(2)
	v_add3_u32 v32, v32, v18, v19
	s_waitcnt lgkmcnt(1)
	v_add3_u32 v32, v32, v22, v23
	v_mbcnt_hi_u32_b32 v15, -1, v15
	s_waitcnt lgkmcnt(0)
	v_add3_u32 v32, v32, v30, v31
	v_and_b32_e32 v33, 15, v15
	v_cmp_ne_u32_e32 vcc, 0, v33
	v_mov_b32_dpp v34, v32 row_shr:1 row_mask:0xf bank_mask:0xf
	v_cndmask_b32_e32 v34, 0, v34, vcc
	v_add_u32_e32 v32, v34, v32
	v_cmp_lt_u32_e32 vcc, 1, v33
	s_nop 0
	v_mov_b32_dpp v34, v32 row_shr:2 row_mask:0xf bank_mask:0xf
	v_cndmask_b32_e32 v34, 0, v34, vcc
	v_add_u32_e32 v32, v32, v34
	v_cmp_lt_u32_e32 vcc, 3, v33
	s_nop 0
	;; [unrolled: 5-line block ×3, first 2 shown]
	v_mov_b32_dpp v34, v32 row_shr:8 row_mask:0xf bank_mask:0xf
	v_cndmask_b32_e32 v33, 0, v34, vcc
	v_add_u32_e32 v32, v32, v33
	v_bfe_i32 v34, v15, 4, 1
	v_cmp_lt_u32_e32 vcc, 31, v15
	v_mov_b32_dpp v33, v32 row_bcast:15 row_mask:0xf bank_mask:0xf
	v_and_b32_e32 v33, v34, v33
	v_add_u32_e32 v32, v32, v33
	v_and_b32_e32 v34, 64, v15
	s_nop 0
	v_mov_b32_dpp v33, v32 row_bcast:31 row_mask:0xf bank_mask:0xf
	v_cndmask_b32_e32 v33, 0, v33, vcc
	v_add_u32_e32 v32, v32, v33
	v_add_u32_e32 v33, -1, v15
	v_cmp_lt_i32_e32 vcc, v33, v34
	v_cndmask_b32_e32 v15, v33, v15, vcc
	v_lshlrev_b32_e32 v15, 2, v15
	ds_bpermute_b32 v15, v15, v32
	s_waitcnt lgkmcnt(0)
	v_add_u32_e32 v15, v15, v16
	v_cndmask_b32_e64 v14, v15, v14, s[22:23]
	v_add_u32_e32 v15, v14, v17
	ds_write2_b32 v25, v14, v15 offset1:1
	v_add_u32_e32 v14, v15, v18
	v_add_u32_e32 v15, v14, v19
	ds_write2_b32 v25, v14, v15 offset0:2 offset1:3
	v_add_u32_e32 v14, v15, v22
	v_add_u32_e32 v15, v14, v23
	ds_write2_b32 v25, v14, v15 offset0:4 offset1:5
	;; [unrolled: 3-line block ×3, first 2 shown]
.LBB7_194:
	s_or_b64 exec, exec, s[8:9]
	s_waitcnt lgkmcnt(0)
	s_barrier
	s_and_saveexec_b64 s[8:9], s[6:7]
	s_cbranch_execz .LBB7_196
; %bb.195:
	ds_read_b32 v13, v26
.LBB7_196:
	s_or_b64 exec, exec, s[8:9]
	v_mov_b32_e32 v14, 0
	ds_read_b32 v15, v14 offset:35160
	s_waitcnt lgkmcnt(1)
	v_add_u32_e32 v13, v13, v12
	v_cmp_lt_i32_e32 vcc, v13, v9
	ds_write_b32 v29, v13 offset:2112
	s_waitcnt lgkmcnt(0)
	v_add_u32_e32 v12, v15, v12
	s_barrier
	s_and_saveexec_b64 s[8:9], vcc
	s_cbranch_execz .LBB7_202
; %bb.197:
	v_mov_b32_e32 v15, v12
	s_and_saveexec_b64 s[24:25], s[12:13]
	s_cbranch_execz .LBB7_199
; %bb.198:
	ds_read_b32 v15, v11 offset:4
.LBB7_199:
	s_or_b64 exec, exec, s[24:25]
	s_waitcnt lgkmcnt(0)
	v_cmp_ge_i32_e32 vcc, v15, v9
	v_mov_b32_e32 v14, 0
	s_and_saveexec_b64 s[24:25], vcc
	s_cbranch_execz .LBB7_201
; %bb.200:
	s_mov_b32 s26, 0xc000
	v_sub_u32_e32 v13, v15, v13
	v_add_u32_e64 v14, s26, 0
	ds_write2_b32 v14, v13, v20 offset0:73 offset1:75
	v_mov_b32_e32 v14, 1
.LBB7_201:
	s_or_b64 exec, exec, s[24:25]
.LBB7_202:
	s_or_b64 exec, exec, s[8:9]
	v_or_b32_dpp v13, v14, v14 row_shl:1 row_mask:0xf bank_mask:0xf bound_ctrl:1
	s_bitcmp1_b32 exec_hi, 0
	s_nop 0
	v_or_b32_dpp v13, v13, v13 row_shl:2 row_mask:0xf bank_mask:0xf bound_ctrl:1
	s_nop 1
	v_or_b32_dpp v13, v13, v13 row_shl:4 row_mask:0xf bank_mask:0xf bound_ctrl:1
	;; [unrolled: 2-line block ×3, first 2 shown]
	s_nop 1
	v_mov_b32_dpp v14, v13 wave_shl:1 row_mask:0xf bank_mask:0xf bound_ctrl:1
	s_nop 1
	v_or_b32_dpp v13, v14, v13 row_mirror row_mask:0xf bank_mask:0xf bound_ctrl:1
	v_readlane_b32 s8, v13, 32
	s_cselect_b32 s8, s8, 0
	v_readlane_b32 s9, v13, 0
	s_or_b32 s26, s8, s9
	v_cndmask_b32_e64 v13, 0, 1, s[54:55]
	v_cmp_ne_u32_e64 s[8:9], 1, v13
	s_andn2_b64 vcc, exec, s[54:55]
	v_mov_b32_e32 v13, s26
	s_cbranch_vccnz .LBB7_209
; %bb.203:
	v_mbcnt_lo_u32_b32 v13, -1, 0
	v_mbcnt_hi_u32_b32 v13, -1, v13
	v_or_b32_e32 v14, v13, v28
	v_cmp_eq_u32_e32 vcc, 0, v14
	s_and_saveexec_b64 s[24:25], vcc
	s_cbranch_execz .LBB7_205
; %bb.204:
	v_mov_b32_e32 v14, 0
	v_mov_b32_e32 v15, s26
	ds_write_b32 v14, v15 offset:32768
.LBB7_205:
	s_or_b64 exec, exec, s[24:25]
	v_cmp_eq_u32_e32 vcc, 0, v13
	s_and_b64 s[28:29], s[14:15], vcc
	s_waitcnt lgkmcnt(0)
	s_barrier
	s_and_saveexec_b64 s[24:25], s[28:29]
	s_cbranch_execz .LBB7_208
; %bb.206:
	v_mbcnt_lo_u32_b32 v13, exec_lo, 0
	v_mbcnt_hi_u32_b32 v13, exec_hi, v13
	v_cmp_eq_u32_e32 vcc, 0, v13
	s_and_b64 exec, exec, vcc
	s_cbranch_execz .LBB7_208
; %bb.207:
	v_mov_b32_e32 v13, 0
	v_mov_b32_e32 v14, s26
	ds_or_b32 v13, v14 offset:32768
.LBB7_208:
	s_or_b64 exec, exec, s[24:25]
	v_mov_b32_e32 v13, 0
	s_waitcnt lgkmcnt(0)
	s_barrier
	ds_read_b32 v13, v13 offset:32768
	s_waitcnt lgkmcnt(0)
	s_barrier
.LBB7_209:
	v_cmp_eq_u32_e32 vcc, 0, v13
	s_cbranch_vccz .LBB7_263
; %bb.210:
	ds_read_b32 v13, v11 offset:2048
	s_waitcnt lgkmcnt(0)
	s_barrier
	ds_write_b32 v27, v13
	s_waitcnt lgkmcnt(0)
	s_barrier
	s_and_saveexec_b64 s[24:25], s[10:11]
	s_cbranch_execz .LBB7_212
; %bb.211:
	ds_read2_b32 v[14:15], v25 offset1:1
	ds_read2_b32 v[16:17], v25 offset0:2 offset1:3
	ds_read2_b32 v[18:19], v25 offset0:4 offset1:5
	ds_read2_b32 v[22:23], v25 offset0:6 offset1:7
	v_mbcnt_lo_u32_b32 v30, -1, 0
	s_waitcnt lgkmcnt(3)
	v_add_u32_e32 v31, v15, v14
	s_waitcnt lgkmcnt(2)
	v_add3_u32 v31, v31, v16, v17
	s_waitcnt lgkmcnt(1)
	v_add3_u32 v31, v31, v18, v19
	v_mbcnt_hi_u32_b32 v30, -1, v30
	s_waitcnt lgkmcnt(0)
	v_add3_u32 v31, v31, v22, v23
	v_and_b32_e32 v32, 15, v30
	v_cmp_ne_u32_e32 vcc, 0, v32
	v_mov_b32_dpp v33, v31 row_shr:1 row_mask:0xf bank_mask:0xf
	v_cndmask_b32_e32 v33, 0, v33, vcc
	v_add_u32_e32 v31, v33, v31
	v_cmp_lt_u32_e32 vcc, 1, v32
	s_nop 0
	v_mov_b32_dpp v33, v31 row_shr:2 row_mask:0xf bank_mask:0xf
	v_cndmask_b32_e32 v33, 0, v33, vcc
	v_add_u32_e32 v31, v31, v33
	v_cmp_lt_u32_e32 vcc, 3, v32
	s_nop 0
	;; [unrolled: 5-line block ×3, first 2 shown]
	v_mov_b32_dpp v33, v31 row_shr:8 row_mask:0xf bank_mask:0xf
	v_cndmask_b32_e32 v32, 0, v33, vcc
	v_add_u32_e32 v31, v31, v32
	v_bfe_i32 v33, v30, 4, 1
	v_cmp_lt_u32_e32 vcc, 31, v30
	v_mov_b32_dpp v32, v31 row_bcast:15 row_mask:0xf bank_mask:0xf
	v_and_b32_e32 v32, v33, v32
	v_add_u32_e32 v31, v31, v32
	v_and_b32_e32 v33, 64, v30
	s_nop 0
	v_mov_b32_dpp v32, v31 row_bcast:31 row_mask:0xf bank_mask:0xf
	v_cndmask_b32_e32 v32, 0, v32, vcc
	v_add_u32_e32 v31, v31, v32
	v_add_u32_e32 v32, -1, v30
	v_cmp_lt_i32_e32 vcc, v32, v33
	v_cndmask_b32_e32 v30, v32, v30, vcc
	v_lshlrev_b32_e32 v30, 2, v30
	ds_bpermute_b32 v30, v30, v31
	s_waitcnt lgkmcnt(0)
	v_add_u32_e32 v14, v30, v14
	v_cndmask_b32_e64 v13, v14, v13, s[22:23]
	v_add_u32_e32 v14, v13, v15
	ds_write2_b32 v25, v13, v14 offset1:1
	v_add_u32_e32 v13, v14, v16
	v_add_u32_e32 v14, v13, v17
	ds_write2_b32 v25, v13, v14 offset0:2 offset1:3
	v_add_u32_e32 v13, v14, v18
	v_add_u32_e32 v14, v13, v19
	ds_write2_b32 v25, v13, v14 offset0:4 offset1:5
	;; [unrolled: 3-line block ×3, first 2 shown]
.LBB7_212:
	s_or_b64 exec, exec, s[24:25]
	v_mov_b32_e32 v13, 0
	v_mov_b32_e32 v14, 0
	s_waitcnt lgkmcnt(0)
	s_barrier
	s_and_saveexec_b64 s[24:25], s[6:7]
	s_cbranch_execz .LBB7_214
; %bb.213:
	ds_read_b32 v14, v26
.LBB7_214:
	s_or_b64 exec, exec, s[24:25]
	ds_read_b32 v15, v13 offset:35160
	s_waitcnt lgkmcnt(1)
	v_add_u32_e32 v14, v14, v12
	v_cmp_lt_i32_e32 vcc, v14, v9
	ds_write_b32 v11, v14 offset:2048
	s_waitcnt lgkmcnt(0)
	v_add_u32_e32 v12, v15, v12
	s_barrier
	s_and_saveexec_b64 s[24:25], vcc
	s_cbranch_execz .LBB7_220
; %bb.215:
	v_mov_b32_e32 v15, v12
	s_and_saveexec_b64 s[26:27], s[12:13]
	s_cbranch_execz .LBB7_217
; %bb.216:
	ds_read_b32 v15, v11 offset:2052
.LBB7_217:
	s_or_b64 exec, exec, s[26:27]
	s_waitcnt lgkmcnt(0)
	v_cmp_ge_i32_e32 vcc, v15, v9
	v_mov_b32_e32 v13, 0
	s_and_saveexec_b64 s[26:27], vcc
	s_cbranch_execz .LBB7_219
; %bb.218:
	s_mov_b32 s28, 0xc000
	v_add_u32_e32 v13, 0x200, v20
	v_sub_u32_e32 v14, v15, v14
	v_add_u32_e64 v15, s28, 0
	ds_write2_b32 v15, v14, v13 offset0:73 offset1:75
	v_mov_b32_e32 v13, 1
.LBB7_219:
	s_or_b64 exec, exec, s[26:27]
.LBB7_220:
	s_or_b64 exec, exec, s[24:25]
	v_or_b32_dpp v13, v13, v13 row_shl:1 row_mask:0xf bank_mask:0xf bound_ctrl:1
	s_bitcmp1_b32 exec_hi, 0
	s_nop 0
	v_or_b32_dpp v13, v13, v13 row_shl:2 row_mask:0xf bank_mask:0xf bound_ctrl:1
	s_nop 1
	v_or_b32_dpp v13, v13, v13 row_shl:4 row_mask:0xf bank_mask:0xf bound_ctrl:1
	;; [unrolled: 2-line block ×3, first 2 shown]
	s_nop 1
	v_mov_b32_dpp v14, v13 wave_shl:1 row_mask:0xf bank_mask:0xf bound_ctrl:1
	s_nop 1
	v_or_b32_dpp v13, v14, v13 row_mirror row_mask:0xf bank_mask:0xf bound_ctrl:1
	v_readlane_b32 s24, v13, 32
	s_cselect_b32 s24, s24, 0
	v_readlane_b32 s25, v13, 0
	s_or_b32 s26, s24, s25
	s_and_b64 vcc, exec, s[8:9]
	v_mov_b32_e32 v13, s26
	s_cbranch_vccnz .LBB7_227
; %bb.221:
	v_mbcnt_lo_u32_b32 v13, -1, 0
	v_mbcnt_hi_u32_b32 v13, -1, v13
	v_or_b32_e32 v14, v13, v28
	v_cmp_eq_u32_e32 vcc, 0, v14
	s_and_saveexec_b64 s[24:25], vcc
	s_cbranch_execz .LBB7_223
; %bb.222:
	v_mov_b32_e32 v14, 0
	v_mov_b32_e32 v15, s26
	ds_write_b32 v14, v15 offset:32768
.LBB7_223:
	s_or_b64 exec, exec, s[24:25]
	v_cmp_eq_u32_e32 vcc, 0, v13
	s_and_b64 s[28:29], s[14:15], vcc
	s_waitcnt lgkmcnt(0)
	s_barrier
	s_and_saveexec_b64 s[24:25], s[28:29]
	s_cbranch_execz .LBB7_226
; %bb.224:
	v_mbcnt_lo_u32_b32 v13, exec_lo, 0
	v_mbcnt_hi_u32_b32 v13, exec_hi, v13
	v_cmp_eq_u32_e32 vcc, 0, v13
	s_and_b64 exec, exec, vcc
	s_cbranch_execz .LBB7_226
; %bb.225:
	v_mov_b32_e32 v13, 0
	v_mov_b32_e32 v14, s26
	ds_or_b32 v13, v14 offset:32768
.LBB7_226:
	s_or_b64 exec, exec, s[24:25]
	v_mov_b32_e32 v13, 0
	s_waitcnt lgkmcnt(0)
	s_barrier
	ds_read_b32 v13, v13 offset:32768
	s_waitcnt lgkmcnt(0)
	s_barrier
.LBB7_227:
	v_cmp_ne_u32_e32 vcc, 0, v13
	s_cbranch_vccnz .LBB7_263
; %bb.228:
	ds_read_b32 v13, v11 offset:4096
	s_waitcnt lgkmcnt(0)
	s_barrier
	ds_write_b32 v27, v13
	s_waitcnt lgkmcnt(0)
	s_barrier
	s_and_saveexec_b64 s[24:25], s[10:11]
	s_cbranch_execz .LBB7_230
; %bb.229:
	ds_read2_b32 v[14:15], v25 offset1:1
	ds_read2_b32 v[16:17], v25 offset0:2 offset1:3
	ds_read2_b32 v[18:19], v25 offset0:4 offset1:5
	;; [unrolled: 1-line block ×3, first 2 shown]
	v_mbcnt_lo_u32_b32 v30, -1, 0
	s_waitcnt lgkmcnt(3)
	v_add_u32_e32 v31, v15, v14
	s_waitcnt lgkmcnt(2)
	v_add3_u32 v31, v31, v16, v17
	s_waitcnt lgkmcnt(1)
	v_add3_u32 v31, v31, v18, v19
	v_mbcnt_hi_u32_b32 v30, -1, v30
	s_waitcnt lgkmcnt(0)
	v_add3_u32 v31, v31, v22, v23
	v_and_b32_e32 v32, 15, v30
	v_cmp_ne_u32_e32 vcc, 0, v32
	v_mov_b32_dpp v33, v31 row_shr:1 row_mask:0xf bank_mask:0xf
	v_cndmask_b32_e32 v33, 0, v33, vcc
	v_add_u32_e32 v31, v33, v31
	v_cmp_lt_u32_e32 vcc, 1, v32
	s_nop 0
	v_mov_b32_dpp v33, v31 row_shr:2 row_mask:0xf bank_mask:0xf
	v_cndmask_b32_e32 v33, 0, v33, vcc
	v_add_u32_e32 v31, v31, v33
	v_cmp_lt_u32_e32 vcc, 3, v32
	s_nop 0
	;; [unrolled: 5-line block ×3, first 2 shown]
	v_mov_b32_dpp v33, v31 row_shr:8 row_mask:0xf bank_mask:0xf
	v_cndmask_b32_e32 v32, 0, v33, vcc
	v_add_u32_e32 v31, v31, v32
	v_bfe_i32 v33, v30, 4, 1
	v_cmp_lt_u32_e32 vcc, 31, v30
	v_mov_b32_dpp v32, v31 row_bcast:15 row_mask:0xf bank_mask:0xf
	v_and_b32_e32 v32, v33, v32
	v_add_u32_e32 v31, v31, v32
	v_and_b32_e32 v33, 64, v30
	s_nop 0
	v_mov_b32_dpp v32, v31 row_bcast:31 row_mask:0xf bank_mask:0xf
	v_cndmask_b32_e32 v32, 0, v32, vcc
	v_add_u32_e32 v31, v31, v32
	v_add_u32_e32 v32, -1, v30
	v_cmp_lt_i32_e32 vcc, v32, v33
	v_cndmask_b32_e32 v30, v32, v30, vcc
	v_lshlrev_b32_e32 v30, 2, v30
	ds_bpermute_b32 v30, v30, v31
	s_waitcnt lgkmcnt(0)
	v_add_u32_e32 v14, v30, v14
	v_cndmask_b32_e64 v13, v14, v13, s[22:23]
	v_add_u32_e32 v14, v13, v15
	ds_write2_b32 v25, v13, v14 offset1:1
	v_add_u32_e32 v13, v14, v16
	v_add_u32_e32 v14, v13, v17
	ds_write2_b32 v25, v13, v14 offset0:2 offset1:3
	v_add_u32_e32 v13, v14, v18
	v_add_u32_e32 v14, v13, v19
	ds_write2_b32 v25, v13, v14 offset0:4 offset1:5
	;; [unrolled: 3-line block ×3, first 2 shown]
.LBB7_230:
	s_or_b64 exec, exec, s[24:25]
	v_mov_b32_e32 v13, 0
	v_mov_b32_e32 v14, 0
	s_waitcnt lgkmcnt(0)
	s_barrier
	s_and_saveexec_b64 s[24:25], s[6:7]
	s_cbranch_execz .LBB7_232
; %bb.231:
	ds_read_b32 v14, v26
.LBB7_232:
	s_or_b64 exec, exec, s[24:25]
	ds_read_b32 v15, v13 offset:35160
	s_waitcnt lgkmcnt(1)
	v_add_u32_e32 v14, v14, v12
	v_cmp_lt_i32_e32 vcc, v14, v9
	ds_write_b32 v11, v14 offset:4096
	s_waitcnt lgkmcnt(0)
	v_add_u32_e32 v12, v15, v12
	s_barrier
	s_and_saveexec_b64 s[24:25], vcc
	s_cbranch_execz .LBB7_238
; %bb.233:
	v_mov_b32_e32 v15, v12
	s_and_saveexec_b64 s[26:27], s[12:13]
	s_cbranch_execz .LBB7_235
; %bb.234:
	ds_read_b32 v15, v11 offset:4100
.LBB7_235:
	s_or_b64 exec, exec, s[26:27]
	s_waitcnt lgkmcnt(0)
	v_cmp_ge_i32_e32 vcc, v15, v9
	v_mov_b32_e32 v13, 0
	s_and_saveexec_b64 s[26:27], vcc
	s_cbranch_execz .LBB7_237
; %bb.236:
	s_mov_b32 s28, 0xc000
	v_or_b32_e32 v13, 0x400, v20
	v_sub_u32_e32 v14, v15, v14
	v_add_u32_e64 v15, s28, 0
	ds_write2_b32 v15, v14, v13 offset0:73 offset1:75
	v_mov_b32_e32 v13, 1
.LBB7_237:
	s_or_b64 exec, exec, s[26:27]
.LBB7_238:
	s_or_b64 exec, exec, s[24:25]
	v_or_b32_dpp v13, v13, v13 row_shl:1 row_mask:0xf bank_mask:0xf bound_ctrl:1
	s_bitcmp1_b32 exec_hi, 0
	s_nop 0
	v_or_b32_dpp v13, v13, v13 row_shl:2 row_mask:0xf bank_mask:0xf bound_ctrl:1
	s_nop 1
	v_or_b32_dpp v13, v13, v13 row_shl:4 row_mask:0xf bank_mask:0xf bound_ctrl:1
	;; [unrolled: 2-line block ×3, first 2 shown]
	s_nop 1
	v_mov_b32_dpp v14, v13 wave_shl:1 row_mask:0xf bank_mask:0xf bound_ctrl:1
	s_nop 1
	v_or_b32_dpp v13, v14, v13 row_mirror row_mask:0xf bank_mask:0xf bound_ctrl:1
	v_readlane_b32 s24, v13, 32
	s_cselect_b32 s24, s24, 0
	v_readlane_b32 s25, v13, 0
	s_or_b32 s26, s24, s25
	s_and_b64 vcc, exec, s[8:9]
	v_mov_b32_e32 v13, s26
	s_cbranch_vccnz .LBB7_245
; %bb.239:
	v_mbcnt_lo_u32_b32 v13, -1, 0
	v_mbcnt_hi_u32_b32 v13, -1, v13
	v_or_b32_e32 v14, v13, v28
	v_cmp_eq_u32_e32 vcc, 0, v14
	s_and_saveexec_b64 s[24:25], vcc
	s_cbranch_execz .LBB7_241
; %bb.240:
	v_mov_b32_e32 v14, 0
	v_mov_b32_e32 v15, s26
	ds_write_b32 v14, v15 offset:32768
.LBB7_241:
	s_or_b64 exec, exec, s[24:25]
	v_cmp_eq_u32_e32 vcc, 0, v13
	s_and_b64 s[28:29], s[14:15], vcc
	s_waitcnt lgkmcnt(0)
	s_barrier
	s_and_saveexec_b64 s[24:25], s[28:29]
	s_cbranch_execz .LBB7_244
; %bb.242:
	v_mbcnt_lo_u32_b32 v13, exec_lo, 0
	v_mbcnt_hi_u32_b32 v13, exec_hi, v13
	v_cmp_eq_u32_e32 vcc, 0, v13
	s_and_b64 exec, exec, vcc
	s_cbranch_execz .LBB7_244
; %bb.243:
	v_mov_b32_e32 v13, 0
	v_mov_b32_e32 v14, s26
	ds_or_b32 v13, v14 offset:32768
.LBB7_244:
	s_or_b64 exec, exec, s[24:25]
	v_mov_b32_e32 v13, 0
	s_waitcnt lgkmcnt(0)
	s_barrier
	ds_read_b32 v13, v13 offset:32768
	s_waitcnt lgkmcnt(0)
	s_barrier
.LBB7_245:
	v_cmp_ne_u32_e32 vcc, 0, v13
	s_cbranch_vccnz .LBB7_263
; %bb.246:
	ds_read_b32 v13, v11 offset:6144
	s_waitcnt lgkmcnt(0)
	s_barrier
	ds_write_b32 v27, v13
	s_waitcnt lgkmcnt(0)
	s_barrier
	s_and_saveexec_b64 s[24:25], s[10:11]
	s_cbranch_execz .LBB7_248
; %bb.247:
	ds_read2_b32 v[14:15], v25 offset1:1
	ds_read2_b32 v[16:17], v25 offset0:2 offset1:3
	ds_read2_b32 v[18:19], v25 offset0:4 offset1:5
	;; [unrolled: 1-line block ×3, first 2 shown]
	v_mbcnt_lo_u32_b32 v30, -1, 0
	s_waitcnt lgkmcnt(3)
	v_add_u32_e32 v31, v15, v14
	s_waitcnt lgkmcnt(2)
	v_add3_u32 v31, v31, v16, v17
	s_waitcnt lgkmcnt(1)
	v_add3_u32 v31, v31, v18, v19
	v_mbcnt_hi_u32_b32 v30, -1, v30
	s_waitcnt lgkmcnt(0)
	v_add3_u32 v31, v31, v22, v23
	v_and_b32_e32 v32, 15, v30
	v_cmp_ne_u32_e32 vcc, 0, v32
	v_mov_b32_dpp v33, v31 row_shr:1 row_mask:0xf bank_mask:0xf
	v_cndmask_b32_e32 v33, 0, v33, vcc
	v_add_u32_e32 v31, v33, v31
	v_cmp_lt_u32_e32 vcc, 1, v32
	s_nop 0
	v_mov_b32_dpp v33, v31 row_shr:2 row_mask:0xf bank_mask:0xf
	v_cndmask_b32_e32 v33, 0, v33, vcc
	v_add_u32_e32 v31, v31, v33
	v_cmp_lt_u32_e32 vcc, 3, v32
	s_nop 0
	;; [unrolled: 5-line block ×3, first 2 shown]
	v_mov_b32_dpp v33, v31 row_shr:8 row_mask:0xf bank_mask:0xf
	v_cndmask_b32_e32 v32, 0, v33, vcc
	v_add_u32_e32 v31, v31, v32
	v_bfe_i32 v33, v30, 4, 1
	v_cmp_lt_u32_e32 vcc, 31, v30
	v_mov_b32_dpp v32, v31 row_bcast:15 row_mask:0xf bank_mask:0xf
	v_and_b32_e32 v32, v33, v32
	v_add_u32_e32 v31, v31, v32
	v_and_b32_e32 v33, 64, v30
	s_nop 0
	v_mov_b32_dpp v32, v31 row_bcast:31 row_mask:0xf bank_mask:0xf
	v_cndmask_b32_e32 v32, 0, v32, vcc
	v_add_u32_e32 v31, v31, v32
	v_add_u32_e32 v32, -1, v30
	v_cmp_lt_i32_e32 vcc, v32, v33
	v_cndmask_b32_e32 v30, v32, v30, vcc
	v_lshlrev_b32_e32 v30, 2, v30
	ds_bpermute_b32 v30, v30, v31
	s_waitcnt lgkmcnt(0)
	v_add_u32_e32 v14, v30, v14
	v_cndmask_b32_e64 v13, v14, v13, s[22:23]
	v_add_u32_e32 v14, v13, v15
	ds_write2_b32 v25, v13, v14 offset1:1
	v_add_u32_e32 v13, v14, v16
	v_add_u32_e32 v14, v13, v17
	ds_write2_b32 v25, v13, v14 offset0:2 offset1:3
	v_add_u32_e32 v13, v14, v18
	v_add_u32_e32 v14, v13, v19
	ds_write2_b32 v25, v13, v14 offset0:4 offset1:5
	;; [unrolled: 3-line block ×3, first 2 shown]
.LBB7_248:
	s_or_b64 exec, exec, s[24:25]
	v_mov_b32_e32 v13, 0
	v_mov_b32_e32 v14, 0
	s_waitcnt lgkmcnt(0)
	s_barrier
	s_and_saveexec_b64 s[24:25], s[6:7]
	s_cbranch_execz .LBB7_250
; %bb.249:
	ds_read_b32 v14, v26
.LBB7_250:
	s_or_b64 exec, exec, s[24:25]
	ds_read_b32 v15, v13 offset:35160
	s_waitcnt lgkmcnt(1)
	v_add_u32_e32 v14, v14, v12
	v_cmp_lt_i32_e32 vcc, v14, v9
	ds_write_b32 v11, v14 offset:6144
	s_waitcnt lgkmcnt(0)
	s_barrier
	s_and_saveexec_b64 s[24:25], vcc
	s_cbranch_execz .LBB7_256
; %bb.251:
	v_add_u32_e32 v12, v15, v12
	s_and_saveexec_b64 s[26:27], s[12:13]
	s_cbranch_execz .LBB7_253
; %bb.252:
	ds_read_b32 v12, v11 offset:6148
.LBB7_253:
	s_or_b64 exec, exec, s[26:27]
	s_waitcnt lgkmcnt(0)
	v_cmp_ge_i32_e32 vcc, v12, v9
	v_mov_b32_e32 v13, 0
	s_and_saveexec_b64 s[26:27], vcc
	s_cbranch_execz .LBB7_255
; %bb.254:
	s_mov_b32 s28, 0xc000
	v_add_u32_e32 v13, 0x600, v20
	v_sub_u32_e32 v12, v12, v14
	v_add_u32_e64 v14, s28, 0
	ds_write2_b32 v14, v12, v13 offset0:73 offset1:75
	v_mov_b32_e32 v13, 1
.LBB7_255:
	s_or_b64 exec, exec, s[26:27]
.LBB7_256:
	s_or_b64 exec, exec, s[24:25]
	v_or_b32_dpp v12, v13, v13 row_shl:1 row_mask:0xf bank_mask:0xf bound_ctrl:1
	s_and_b64 vcc, exec, s[8:9]
	s_nop 0
	v_or_b32_dpp v12, v12, v12 row_shl:2 row_mask:0xf bank_mask:0xf bound_ctrl:1
	s_nop 1
	v_or_b32_dpp v12, v12, v12 row_shl:4 row_mask:0xf bank_mask:0xf bound_ctrl:1
	;; [unrolled: 2-line block ×3, first 2 shown]
	s_nop 1
	v_mov_b32_dpp v13, v12 wave_shl:1 row_mask:0xf bank_mask:0xf bound_ctrl:1
	s_nop 1
	v_or_b32_dpp v12, v13, v12 row_mirror row_mask:0xf bank_mask:0xf bound_ctrl:1
	v_readlane_b32 s24, v12, 32
	v_readlane_b32 s8, v12, 0
	s_cbranch_vccnz .LBB7_263
; %bb.257:
	v_mbcnt_lo_u32_b32 v12, -1, 0
	s_bitcmp1_b32 exec_hi, 0
	v_mbcnt_hi_u32_b32 v12, -1, v12
	s_cselect_b32 s9, s24, 0
	v_or_b32_e32 v13, v12, v28
	s_or_b32 s24, s9, s8
	v_cmp_eq_u32_e32 vcc, 0, v13
	s_and_saveexec_b64 s[8:9], vcc
	s_cbranch_execz .LBB7_259
; %bb.258:
	v_mov_b32_e32 v13, 0
	v_mov_b32_e32 v14, s24
	ds_write_b32 v13, v14 offset:32768
.LBB7_259:
	s_or_b64 exec, exec, s[8:9]
	v_cmp_eq_u32_e32 vcc, 0, v12
	s_and_b64 s[26:27], s[14:15], vcc
	s_waitcnt lgkmcnt(0)
	s_barrier
	s_and_saveexec_b64 s[8:9], s[26:27]
	s_cbranch_execz .LBB7_262
; %bb.260:
	v_mbcnt_lo_u32_b32 v12, exec_lo, 0
	v_mbcnt_hi_u32_b32 v12, exec_hi, v12
	v_cmp_eq_u32_e32 vcc, 0, v12
	s_and_b64 exec, exec, vcc
	s_cbranch_execz .LBB7_262
; %bb.261:
	v_mov_b32_e32 v12, 0
	v_mov_b32_e32 v13, s24
	ds_or_b32 v12, v13 offset:32768
.LBB7_262:
	s_or_b64 exec, exec, s[8:9]
	v_mov_b32_e32 v12, 0
	s_waitcnt lgkmcnt(0)
	s_barrier
	ds_read_b32 v12, v12 offset:32768
	s_waitcnt lgkmcnt(0)
	s_barrier
.LBB7_263:
	v_mov_b32_e32 v12, 0
	s_waitcnt lgkmcnt(0)
	s_barrier
	ds_read_b32 v30, v12 offset:49452
	s_and_saveexec_b64 s[8:9], s[4:5]
	s_xor_b64 s[8:9], exec, s[8:9]
	s_cbranch_execz .LBB7_276
; %bb.264:
	v_add_u32_e32 v14, v20, v2
	v_cmp_lt_i32_e32 vcc, v14, v10
	s_and_saveexec_b64 s[24:25], vcc
	s_cbranch_execz .LBB7_275
; %bb.265:
	s_ashr_i32 s51, s50, 31
	s_lshl_b64 s[26:27], s[50:51], 2
	s_getpc_b64 s[28:29]
	s_add_u32 s28, s28, llvm.amdgcn.dynlds.offset.table@rel32@lo+4
	s_addc_u32 s29, s29, llvm.amdgcn.dynlds.offset.table@rel32@hi+12
	v_mov_b32_e32 v15, 0
	s_add_u32 s26, s26, s28
	ds_read_b32 v12, v15 offset:49444
	s_addc_u32 s27, s27, s29
	s_load_dword s38, s[26:27], 0x0
	v_lshl_add_u32 v17, v2, 1, v20
	v_lshlrev_b32_e32 v18, 9, v8
	s_waitcnt lgkmcnt(0)
	v_readfirstlane_b32 s26, v12
	s_cmpk_lt_i32 s26, 0x801
	v_lshl_add_u32 v16, v9, 2, s38
	s_cselect_b64 s[26:27], -1, 0
	v_mul_lo_u32 v12, v8, v14
	s_mov_b64 s[28:29], 0
	s_branch .LBB7_268
.LBB7_266:                              ;   in Loop: Header=BB7_268 Depth=1
	s_or_b64 exec, exec, s[34:35]
	s_waitcnt lgkmcnt(0)
	v_readfirstlane_b32 vcc_lo, v22
	v_add_lshl_u32 v19, vcc_lo, v19, 2
	v_add_u32_e32 v19, 32, v19
	ds_write2st64_b32 v19, v17, v13 offset0:129 offset1:161
.LBB7_267:                              ;   in Loop: Header=BB7_268 Depth=1
	s_or_b64 exec, exec, s[30:31]
	v_add_u32_e32 v14, 0x200, v14
	v_cmp_ge_i32_e32 vcc, v14, v10
	v_add_u32_e32 v17, 0x200, v17
	s_or_b64 s[28:29], vcc, s[28:29]
	v_add_u32_e32 v12, v12, v18
	s_andn2_b64 exec, exec, s[28:29]
	s_cbranch_execz .LBB7_275
.LBB7_268:                              ; =>This Inner Loop Header: Depth=1
	v_ashrrev_i32_e32 v13, 31, v12
	v_lshlrev_b64 v[22:23], 2, v[12:13]
	v_add_co_u32_e32 v22, vcc, v0, v22
	v_addc_co_u32_e32 v23, vcc, v1, v23, vcc
	flat_load_dword v13, v[22:23]
	s_waitcnt vmcnt(0) lgkmcnt(0)
	v_not_b32_e32 v19, v13
	v_and_b32_e32 v19, 0x7fe00000, v19
	v_cmp_gt_i32_e32 vcc, 0, v13
	v_cndmask_b32_e32 v19, v19, v13, vcc
	v_lshrrev_b32_e32 v19, 21, v19
	v_cmp_lt_u32_e32 vcc, v19, v30
	s_and_saveexec_b64 s[30:31], vcc
	s_cbranch_execz .LBB7_272
; %bb.269:                              ;   in Loop: Header=BB7_268 Depth=1
	s_mov_b64 s[36:37], exec
	v_mbcnt_lo_u32_b32 v22, s36, 0
	v_mbcnt_hi_u32_b32 v22, s37, v22
	v_cmp_eq_u32_e32 vcc, 0, v22
                                        ; implicit-def: $vgpr23
	s_and_saveexec_b64 s[34:35], vcc
	s_cbranch_execz .LBB7_271
; %bb.270:                              ;   in Loop: Header=BB7_268 Depth=1
	s_bcnt1_i32_b64 vcc_lo, s[36:37]
	v_mov_b32_e32 v23, vcc_lo
	ds_add_rtn_u32 v23, v15, v23 offset:49448
.LBB7_271:                              ;   in Loop: Header=BB7_268 Depth=1
	s_or_b64 exec, exec, s[34:35]
	s_waitcnt lgkmcnt(0)
	v_readfirstlane_b32 vcc_lo, v23
	v_add_lshl_u32 v22, vcc_lo, v22, 2
	v_add_u32_e32 v23, s38, v22
	v_add_u32_e32 v22, v16, v22
	ds_write_b32 v23, v17
	ds_write_b32 v22, v13
.LBB7_272:                              ;   in Loop: Header=BB7_268 Depth=1
	s_or_b64 exec, exec, s[30:31]
	v_cmp_eq_u32_e32 vcc, v19, v30
	s_and_b64 vcc, vcc, s[26:27]
	s_and_saveexec_b64 s[30:31], vcc
	s_cbranch_execz .LBB7_267
; %bb.273:                              ;   in Loop: Header=BB7_268 Depth=1
	s_mov_b64 s[36:37], exec
	v_mbcnt_lo_u32_b32 v19, s36, 0
	v_mbcnt_hi_u32_b32 v19, s37, v19
	v_cmp_eq_u32_e32 vcc, 0, v19
                                        ; implicit-def: $vgpr22
	s_and_saveexec_b64 s[34:35], vcc
	s_cbranch_execz .LBB7_266
; %bb.274:                              ;   in Loop: Header=BB7_268 Depth=1
	s_bcnt1_i32_b64 vcc_lo, s[36:37]
	v_mov_b32_e32 v22, vcc_lo
	ds_add_rtn_u32 v22, v15, v22 offset:49440
	s_branch .LBB7_266
.LBB7_275:
	s_or_b64 exec, exec, s[24:25]
.LBB7_276:
	s_andn2_saveexec_b64 s[24:25], s[8:9]
	s_cbranch_execz .LBB7_331
; %bb.277:
	v_lshlrev_b64 v[12:13], 2, v[2:3]
	v_add_co_u32_e32 v31, vcc, v0, v12
	v_and_b32_e32 v18, 15, v31
	v_mov_b32_e32 v19, 0
	v_addc_co_u32_e32 v32, vcc, v1, v13, vcc
	v_sub_u32_e32 v14, 16, v18
	v_lshrrev_b32_e32 v14, 2, v14
	v_cmp_ne_u64_e32 vcc, 0, v[18:19]
	v_cndmask_b32_e32 v14, 0, v14, vcc
	v_min_i32_e32 v16, v14, v24
	v_sub_u32_e32 v14, v24, v16
	v_ashrrev_i32_e32 v15, 31, v14
	v_lshrrev_b32_e32 v15, 30, v15
	v_add_u32_e32 v14, v14, v15
	v_ashrrev_i32_e32 v18, 2, v14
	s_mov_b64 s[26:27], 0
	v_ashrrev_i32_e32 v17, 31, v16
	v_cmp_gt_i32_e32 vcc, v18, v20
	s_and_saveexec_b64 s[28:29], vcc
	s_cbranch_execz .LBB7_312
; %bb.278:
	ds_read_b32 v14, v19 offset:49444
	v_lshlrev_b32_e32 v22, 4, v20
	v_add3_u32 v33, v2, v16, v21
	v_mov_b32_e32 v34, v20
	s_waitcnt lgkmcnt(0)
	v_readfirstlane_b32 s34, v14
	s_cmpk_lt_i32 s34, 0x801
	s_cselect_b64 s[30:31], -1, 0
	s_ashr_i32 s51, s50, 31
	s_getpc_b64 s[8:9]
	s_add_u32 s8, s8, llvm.amdgcn.dynlds.offset.table@rel32@lo+4
	s_addc_u32 s9, s9, llvm.amdgcn.dynlds.offset.table@rel32@hi+12
	s_lshl_b64 vcc, s[50:51], 2
	s_add_u32 s8, vcc_lo, s8
	s_addc_u32 s9, vcc_hi, s9
	v_lshlrev_b64 v[14:15], 2, v[16:17]
	s_load_dword s40, s[8:9], 0x0
	v_add_co_u32_e32 v14, vcc, v22, v14
	v_addc_co_u32_e32 v15, vcc, 0, v15, vcc
	v_add_co_u32_e32 v12, vcc, v14, v12
	s_cmpk_gt_i32 s34, 0x800
	v_addc_co_u32_e32 v13, vcc, v15, v13, vcc
	s_cselect_b64 s[8:9], -1, 0
	v_add_co_u32_e32 v22, vcc, v0, v12
	s_waitcnt lgkmcnt(0)
	v_lshl_add_u32 v17, v9, 2, s40
	v_addc_co_u32_e32 v23, vcc, v1, v13, vcc
	v_mov_b32_e32 v35, s40
	s_xor_b64 s[34:35], s[8:9], -1
	s_branch .LBB7_281
.LBB7_279:                              ;   in Loop: Header=BB7_281 Depth=1
	s_or_b64 exec, exec, s[36:37]
	s_waitcnt lgkmcnt(0)
	v_readfirstlane_b32 vcc_lo, v13
	v_add_lshl_u32 v12, vcc_lo, v12, 2
	v_add_u32_e32 v13, 3, v33
	v_add_u32_e32 v12, 32, v12
	ds_write2st64_b32 v12, v13, v15 offset0:129 offset1:161
.LBB7_280:                              ;   in Loop: Header=BB7_281 Depth=1
	s_or_b64 exec, exec, s[8:9]
	v_add_u32_e32 v34, 0x200, v34
	v_add_co_u32_e32 v22, vcc, 0x2000, v22
	v_cmp_ge_i32_e64 s[8:9], v34, v18
	v_add_u32_e32 v33, 0x800, v33
	s_or_b64 s[26:27], s[8:9], s[26:27]
	v_addc_co_u32_e32 v23, vcc, 0, v23, vcc
	s_andn2_b64 exec, exec, s[26:27]
	s_cbranch_execz .LBB7_312
.LBB7_281:                              ; =>This Inner Loop Header: Depth=1
	flat_load_dwordx4 v[12:15], v[22:23]
	s_waitcnt vmcnt(0) lgkmcnt(0)
	v_not_b32_e32 v36, v12
	v_and_b32_e32 v36, 0x7fe00000, v36
	v_cmp_gt_i32_e32 vcc, 0, v12
	v_cndmask_b32_e32 v36, v36, v12, vcc
	v_lshrrev_b32_e32 v36, 21, v36
	v_cmp_lt_u32_e32 vcc, v36, v30
	s_and_saveexec_b64 s[8:9], vcc
	s_cbranch_execz .LBB7_285
; %bb.282:                              ;   in Loop: Header=BB7_281 Depth=1
	s_mov_b64 s[38:39], exec
	v_mbcnt_lo_u32_b32 v37, s38, 0
	v_mbcnt_hi_u32_b32 v37, s39, v37
	v_cmp_eq_u32_e32 vcc, 0, v37
                                        ; implicit-def: $vgpr38
	s_and_saveexec_b64 s[36:37], vcc
	s_cbranch_execz .LBB7_284
; %bb.283:                              ;   in Loop: Header=BB7_281 Depth=1
	s_bcnt1_i32_b64 vcc_lo, s[38:39]
	v_mov_b32_e32 v38, vcc_lo
	ds_add_rtn_u32 v38, v19, v38 offset:49448
.LBB7_284:                              ;   in Loop: Header=BB7_281 Depth=1
	s_or_b64 exec, exec, s[36:37]
	s_waitcnt lgkmcnt(0)
	v_readfirstlane_b32 vcc_lo, v38
	v_add_lshl_u32 v37, vcc_lo, v37, 2
	v_add_u32_e32 v38, v35, v37
	v_add_u32_e32 v37, v17, v37
	ds_write_b32 v38, v33
	ds_write_b32 v37, v12
.LBB7_285:                              ;   in Loop: Header=BB7_281 Depth=1
	s_or_b64 exec, exec, s[8:9]
	v_cmp_eq_u32_e32 vcc, v36, v30
	s_and_b64 vcc, vcc, s[34:35]
	s_and_saveexec_b64 s[8:9], vcc
	s_cbranch_execz .LBB7_289
; %bb.286:                              ;   in Loop: Header=BB7_281 Depth=1
	s_mov_b64 s[38:39], exec
	v_mbcnt_lo_u32_b32 v36, s38, 0
	v_mbcnt_hi_u32_b32 v36, s39, v36
	v_cmp_eq_u32_e32 vcc, 0, v36
                                        ; implicit-def: $vgpr37
	s_and_saveexec_b64 s[36:37], vcc
	s_cbranch_execz .LBB7_288
; %bb.287:                              ;   in Loop: Header=BB7_281 Depth=1
	s_bcnt1_i32_b64 vcc_lo, s[38:39]
	v_mov_b32_e32 v37, vcc_lo
	ds_add_rtn_u32 v37, v19, v37 offset:49440
.LBB7_288:                              ;   in Loop: Header=BB7_281 Depth=1
	s_or_b64 exec, exec, s[36:37]
	s_waitcnt lgkmcnt(0)
	v_readfirstlane_b32 vcc_lo, v37
	v_add_lshl_u32 v36, vcc_lo, v36, 2
	v_add_u32_e32 v36, 32, v36
	ds_write2st64_b32 v36, v33, v12 offset0:129 offset1:161
.LBB7_289:                              ;   in Loop: Header=BB7_281 Depth=1
	s_or_b64 exec, exec, s[8:9]
	v_not_b32_e32 v12, v13
	v_and_b32_e32 v12, 0x7fe00000, v12
	v_cmp_gt_i32_e32 vcc, 0, v13
	v_cndmask_b32_e32 v12, v12, v13, vcc
	v_lshrrev_b32_e32 v12, 21, v12
	v_cmp_lt_u32_e32 vcc, v12, v30
	s_and_saveexec_b64 s[8:9], vcc
	s_cbranch_execz .LBB7_293
; %bb.290:                              ;   in Loop: Header=BB7_281 Depth=1
	s_mov_b64 s[38:39], exec
	v_mbcnt_lo_u32_b32 v36, s38, 0
	v_mbcnt_hi_u32_b32 v36, s39, v36
	v_cmp_eq_u32_e32 vcc, 0, v36
                                        ; implicit-def: $vgpr37
	s_and_saveexec_b64 s[36:37], vcc
	s_cbranch_execz .LBB7_292
; %bb.291:                              ;   in Loop: Header=BB7_281 Depth=1
	s_bcnt1_i32_b64 vcc_lo, s[38:39]
	v_mov_b32_e32 v37, vcc_lo
	ds_add_rtn_u32 v37, v19, v37 offset:49448
.LBB7_292:                              ;   in Loop: Header=BB7_281 Depth=1
	s_or_b64 exec, exec, s[36:37]
	s_waitcnt lgkmcnt(0)
	v_readfirstlane_b32 vcc_lo, v37
	v_add_lshl_u32 v36, vcc_lo, v36, 2
	v_add_u32_e32 v37, 1, v33
	v_add_u32_e32 v38, v35, v36
	;; [unrolled: 1-line block ×3, first 2 shown]
	ds_write_b32 v38, v37
	ds_write_b32 v36, v13
.LBB7_293:                              ;   in Loop: Header=BB7_281 Depth=1
	s_or_b64 exec, exec, s[8:9]
	v_cmp_eq_u32_e32 vcc, v12, v30
	s_and_b64 vcc, vcc, s[34:35]
	s_and_saveexec_b64 s[8:9], vcc
	s_cbranch_execz .LBB7_297
; %bb.294:                              ;   in Loop: Header=BB7_281 Depth=1
	s_mov_b64 s[38:39], exec
	v_mbcnt_lo_u32_b32 v12, s38, 0
	v_mbcnt_hi_u32_b32 v12, s39, v12
	v_cmp_eq_u32_e32 vcc, 0, v12
                                        ; implicit-def: $vgpr36
	s_and_saveexec_b64 s[36:37], vcc
	s_cbranch_execz .LBB7_296
; %bb.295:                              ;   in Loop: Header=BB7_281 Depth=1
	s_bcnt1_i32_b64 vcc_lo, s[38:39]
	v_mov_b32_e32 v36, vcc_lo
	ds_add_rtn_u32 v36, v19, v36 offset:49440
.LBB7_296:                              ;   in Loop: Header=BB7_281 Depth=1
	s_or_b64 exec, exec, s[36:37]
	s_waitcnt lgkmcnt(0)
	v_readfirstlane_b32 vcc_lo, v36
	v_add_lshl_u32 v12, vcc_lo, v12, 2
	v_add_u32_e32 v36, 1, v33
	v_add_u32_e32 v12, 32, v12
	ds_write2st64_b32 v12, v36, v13 offset0:129 offset1:161
.LBB7_297:                              ;   in Loop: Header=BB7_281 Depth=1
	s_or_b64 exec, exec, s[8:9]
	v_not_b32_e32 v12, v14
	v_and_b32_e32 v12, 0x7fe00000, v12
	v_cmp_gt_i32_e32 vcc, 0, v14
	v_cndmask_b32_e32 v12, v12, v14, vcc
	v_lshrrev_b32_e32 v12, 21, v12
	v_cmp_lt_u32_e32 vcc, v12, v30
	s_and_saveexec_b64 s[8:9], vcc
	s_cbranch_execz .LBB7_301
; %bb.298:                              ;   in Loop: Header=BB7_281 Depth=1
	s_mov_b64 s[38:39], exec
	v_mbcnt_lo_u32_b32 v13, s38, 0
	v_mbcnt_hi_u32_b32 v13, s39, v13
	v_cmp_eq_u32_e32 vcc, 0, v13
                                        ; implicit-def: $vgpr36
	s_and_saveexec_b64 s[36:37], vcc
	s_cbranch_execz .LBB7_300
; %bb.299:                              ;   in Loop: Header=BB7_281 Depth=1
	s_bcnt1_i32_b64 vcc_lo, s[38:39]
	v_mov_b32_e32 v36, vcc_lo
	ds_add_rtn_u32 v36, v19, v36 offset:49448
.LBB7_300:                              ;   in Loop: Header=BB7_281 Depth=1
	s_or_b64 exec, exec, s[36:37]
	s_waitcnt lgkmcnt(0)
	v_readfirstlane_b32 vcc_lo, v36
	v_add_lshl_u32 v13, vcc_lo, v13, 2
	v_add_u32_e32 v36, 2, v33
	v_add_u32_e32 v37, v35, v13
	;; [unrolled: 1-line block ×3, first 2 shown]
	ds_write_b32 v37, v36
	ds_write_b32 v13, v14
.LBB7_301:                              ;   in Loop: Header=BB7_281 Depth=1
	s_or_b64 exec, exec, s[8:9]
	v_cmp_eq_u32_e32 vcc, v12, v30
	s_and_b64 vcc, vcc, s[34:35]
	s_and_saveexec_b64 s[8:9], vcc
	s_cbranch_execz .LBB7_305
; %bb.302:                              ;   in Loop: Header=BB7_281 Depth=1
	s_mov_b64 s[38:39], exec
	v_mbcnt_lo_u32_b32 v12, s38, 0
	v_mbcnt_hi_u32_b32 v12, s39, v12
	v_cmp_eq_u32_e32 vcc, 0, v12
                                        ; implicit-def: $vgpr13
	s_and_saveexec_b64 s[36:37], vcc
	s_cbranch_execz .LBB7_304
; %bb.303:                              ;   in Loop: Header=BB7_281 Depth=1
	s_bcnt1_i32_b64 vcc_lo, s[38:39]
	v_mov_b32_e32 v13, vcc_lo
	ds_add_rtn_u32 v13, v19, v13 offset:49440
.LBB7_304:                              ;   in Loop: Header=BB7_281 Depth=1
	s_or_b64 exec, exec, s[36:37]
	s_waitcnt lgkmcnt(0)
	v_readfirstlane_b32 vcc_lo, v13
	v_add_lshl_u32 v12, vcc_lo, v12, 2
	v_add_u32_e32 v13, 2, v33
	v_add_u32_e32 v12, 32, v12
	ds_write2st64_b32 v12, v13, v14 offset0:129 offset1:161
.LBB7_305:                              ;   in Loop: Header=BB7_281 Depth=1
	s_or_b64 exec, exec, s[8:9]
	v_not_b32_e32 v12, v15
	v_and_b32_e32 v12, 0x7fe00000, v12
	v_cmp_gt_i32_e32 vcc, 0, v15
	v_cndmask_b32_e32 v12, v12, v15, vcc
	v_lshrrev_b32_e32 v12, 21, v12
	v_cmp_lt_u32_e32 vcc, v12, v30
	s_and_saveexec_b64 s[8:9], vcc
	s_cbranch_execz .LBB7_309
; %bb.306:                              ;   in Loop: Header=BB7_281 Depth=1
	s_mov_b64 s[38:39], exec
	v_mbcnt_lo_u32_b32 v13, s38, 0
	v_mbcnt_hi_u32_b32 v13, s39, v13
	v_cmp_eq_u32_e32 vcc, 0, v13
                                        ; implicit-def: $vgpr14
	s_and_saveexec_b64 s[36:37], vcc
	s_cbranch_execz .LBB7_308
; %bb.307:                              ;   in Loop: Header=BB7_281 Depth=1
	s_bcnt1_i32_b64 vcc_lo, s[38:39]
	v_mov_b32_e32 v14, vcc_lo
	ds_add_rtn_u32 v14, v19, v14 offset:49448
.LBB7_308:                              ;   in Loop: Header=BB7_281 Depth=1
	s_or_b64 exec, exec, s[36:37]
	s_waitcnt lgkmcnt(0)
	v_readfirstlane_b32 vcc_lo, v14
	v_add_lshl_u32 v13, vcc_lo, v13, 2
	v_add_u32_e32 v14, 3, v33
	v_add_u32_e32 v35, s40, v13
	ds_write_b32 v35, v14
	v_add_u32_e32 v13, v17, v13
	v_mov_b32_e32 v35, s40
	ds_write_b32 v13, v15
.LBB7_309:                              ;   in Loop: Header=BB7_281 Depth=1
	s_or_b64 exec, exec, s[8:9]
	v_cmp_eq_u32_e32 vcc, v12, v30
	s_and_b64 vcc, vcc, s[30:31]
	s_and_saveexec_b64 s[8:9], vcc
	s_cbranch_execz .LBB7_280
; %bb.310:                              ;   in Loop: Header=BB7_281 Depth=1
	s_mov_b64 s[38:39], exec
	v_mbcnt_lo_u32_b32 v12, s38, 0
	v_mbcnt_hi_u32_b32 v12, s39, v12
	v_cmp_eq_u32_e32 vcc, 0, v12
                                        ; implicit-def: $vgpr13
	s_and_saveexec_b64 s[36:37], vcc
	s_cbranch_execz .LBB7_279
; %bb.311:                              ;   in Loop: Header=BB7_281 Depth=1
	s_bcnt1_i32_b64 vcc_lo, s[38:39]
	v_mov_b32_e32 v13, vcc_lo
	ds_add_rtn_u32 v13, v19, v13 offset:49440
	s_branch .LBB7_279
.LBB7_312:
	s_or_b64 exec, exec, s[28:29]
	v_cmp_gt_u32_e32 vcc, v16, v20
	s_and_saveexec_b64 s[8:9], vcc
	s_cbranch_execz .LBB7_321
; %bb.313:
	v_add_co_u32_e32 v12, vcc, v31, v21
	v_addc_co_u32_e32 v13, vcc, 0, v32, vcc
	flat_load_dword v12, v[12:13]
	s_waitcnt vmcnt(0) lgkmcnt(0)
	v_not_b32_e32 v13, v12
	v_and_b32_e32 v13, 0x7fe00000, v13
	v_cmp_gt_i32_e32 vcc, 0, v12
	v_cndmask_b32_e32 v13, v13, v12, vcc
	v_lshrrev_b32_e32 v13, 21, v13
	v_cmp_lt_u32_e32 vcc, v13, v30
	s_and_saveexec_b64 s[26:27], vcc
	s_cbranch_execz .LBB7_317
; %bb.314:
	s_mov_b64 s[30:31], exec
	v_mbcnt_lo_u32_b32 v14, s30, 0
	v_mbcnt_hi_u32_b32 v14, s31, v14
	v_cmp_eq_u32_e32 vcc, 0, v14
                                        ; implicit-def: $vgpr15
	s_and_saveexec_b64 s[28:29], vcc
	s_cbranch_execz .LBB7_316
; %bb.315:
	s_bcnt1_i32_b64 vcc_lo, s[30:31]
	v_mov_b32_e32 v15, 0
	v_mov_b32_e32 v17, vcc_lo
	ds_add_rtn_u32 v15, v15, v17 offset:49448
.LBB7_316:
	s_or_b64 exec, exec, s[28:29]
	s_ashr_i32 s51, s50, 31
	s_lshl_b64 s[28:29], s[50:51], 2
	s_getpc_b64 vcc
	s_add_u32 vcc_lo, vcc_lo, llvm.amdgcn.dynlds.offset.table@rel32@lo+4
	s_addc_u32 vcc_hi, vcc_hi, llvm.amdgcn.dynlds.offset.table@rel32@hi+12
	s_add_u32 s28, s28, vcc_lo
	s_addc_u32 s29, s29, vcc_hi
	s_load_dword s28, s[28:29], 0x0
	s_waitcnt lgkmcnt(0)
	v_readfirstlane_b32 s29, v15
	v_add_u32_e32 v14, s29, v14
	v_add_u32_e32 v15, v20, v2
	v_lshl_add_u32 v14, v14, 2, s28
	ds_write_b32 v14, v15
	v_lshl_add_u32 v14, v9, 2, v14
	ds_write_b32 v14, v12
.LBB7_317:
	s_or_b64 exec, exec, s[26:27]
	v_mov_b32_e32 v14, 0
	ds_read_b32 v14, v14 offset:49444
	v_cmp_eq_u32_e32 vcc, v13, v30
	s_waitcnt lgkmcnt(0)
	v_readfirstlane_b32 s26, v14
	s_cmpk_lt_i32 s26, 0x801
	s_cselect_b64 s[26:27], -1, 0
	s_and_b64 s[26:27], vcc, s[26:27]
	s_and_b64 exec, exec, s[26:27]
	s_cbranch_execz .LBB7_321
; %bb.318:
	s_mov_b64 s[28:29], exec
	v_mbcnt_lo_u32_b32 v13, s28, 0
	v_mbcnt_hi_u32_b32 v13, s29, v13
	v_cmp_eq_u32_e32 vcc, 0, v13
                                        ; implicit-def: $vgpr14
	s_and_saveexec_b64 s[26:27], vcc
	s_cbranch_execz .LBB7_320
; %bb.319:
	s_bcnt1_i32_b64 s28, s[28:29]
	v_mov_b32_e32 v14, 0
	v_mov_b32_e32 v15, s28
	ds_add_rtn_u32 v14, v14, v15 offset:49440
.LBB7_320:
	s_or_b64 exec, exec, s[26:27]
	s_waitcnt lgkmcnt(0)
	v_readfirstlane_b32 s26, v14
	v_add_lshl_u32 v13, s26, v13, 2
	v_add_u32_e32 v14, v20, v2
	v_add_u32_e32 v13, 32, v13
	ds_write2st64_b32 v13, v14, v12 offset0:129 offset1:161
.LBB7_321:
	s_or_b64 exec, exec, s[8:9]
	v_lshlrev_b32_e32 v12, 2, v18
	v_add3_u32 v12, v16, v20, v12
	v_cmp_lt_i32_e32 vcc, v12, v24
	s_and_saveexec_b64 s[8:9], vcc
	s_cbranch_execz .LBB7_330
; %bb.322:
	v_ashrrev_i32_e32 v13, 31, v12
	v_lshlrev_b64 v[14:15], 2, v[12:13]
	v_add_co_u32_e32 v14, vcc, v31, v14
	v_addc_co_u32_e32 v15, vcc, v32, v15, vcc
	flat_load_dword v13, v[14:15]
	s_waitcnt vmcnt(0) lgkmcnt(0)
	v_not_b32_e32 v14, v13
	v_and_b32_e32 v14, 0x7fe00000, v14
	v_cmp_gt_i32_e32 vcc, 0, v13
	v_cndmask_b32_e32 v14, v14, v13, vcc
	v_lshrrev_b32_e32 v14, 21, v14
	v_cmp_lt_u32_e32 vcc, v14, v30
	s_and_saveexec_b64 s[26:27], vcc
	s_cbranch_execz .LBB7_326
; %bb.323:
	s_mov_b64 s[30:31], exec
	v_mbcnt_lo_u32_b32 v15, s30, 0
	v_mbcnt_hi_u32_b32 v15, s31, v15
	v_cmp_eq_u32_e32 vcc, 0, v15
                                        ; implicit-def: $vgpr16
	s_and_saveexec_b64 s[28:29], vcc
	s_cbranch_execz .LBB7_325
; %bb.324:
	s_bcnt1_i32_b64 vcc_lo, s[30:31]
	v_mov_b32_e32 v16, 0
	v_mov_b32_e32 v17, vcc_lo
	ds_add_rtn_u32 v16, v16, v17 offset:49448
.LBB7_325:
	s_or_b64 exec, exec, s[28:29]
	s_ashr_i32 s51, s50, 31
	s_lshl_b64 s[28:29], s[50:51], 2
	s_getpc_b64 vcc
	s_add_u32 vcc_lo, vcc_lo, llvm.amdgcn.dynlds.offset.table@rel32@lo+4
	s_addc_u32 vcc_hi, vcc_hi, llvm.amdgcn.dynlds.offset.table@rel32@hi+12
	s_add_u32 s28, s28, vcc_lo
	s_addc_u32 s29, s29, vcc_hi
	s_load_dword s28, s[28:29], 0x0
	s_waitcnt lgkmcnt(0)
	v_readfirstlane_b32 s29, v16
	v_add_u32_e32 v15, s29, v15
	v_add_u32_e32 v16, v12, v2
	v_lshl_add_u32 v15, v15, 2, s28
	ds_write_b32 v15, v16
	v_lshl_add_u32 v15, v9, 2, v15
	ds_write_b32 v15, v13
.LBB7_326:
	s_or_b64 exec, exec, s[26:27]
	v_mov_b32_e32 v15, 0
	ds_read_b32 v15, v15 offset:49444
	v_cmp_eq_u32_e32 vcc, v14, v30
	s_waitcnt lgkmcnt(0)
	v_readfirstlane_b32 s26, v15
	s_cmpk_lt_i32 s26, 0x801
	s_cselect_b64 s[26:27], -1, 0
	s_and_b64 s[26:27], vcc, s[26:27]
	s_and_b64 exec, exec, s[26:27]
	s_cbranch_execz .LBB7_330
; %bb.327:
	s_mov_b64 s[28:29], exec
	v_mbcnt_lo_u32_b32 v14, s28, 0
	v_mbcnt_hi_u32_b32 v14, s29, v14
	v_cmp_eq_u32_e32 vcc, 0, v14
                                        ; implicit-def: $vgpr15
	s_and_saveexec_b64 s[26:27], vcc
	s_cbranch_execz .LBB7_329
; %bb.328:
	s_bcnt1_i32_b64 s28, s[28:29]
	v_mov_b32_e32 v15, 0
	v_mov_b32_e32 v16, s28
	ds_add_rtn_u32 v15, v15, v16 offset:49440
.LBB7_329:
	s_or_b64 exec, exec, s[26:27]
	s_waitcnt lgkmcnt(0)
	v_readfirstlane_b32 s26, v15
	v_add_lshl_u32 v14, s26, v14, 2
	v_add_u32_e32 v12, v12, v2
	v_add_u32_e32 v14, 32, v14
	ds_write2st64_b32 v14, v12, v13 offset0:129 offset1:161
.LBB7_330:
	s_or_b64 exec, exec, s[8:9]
.LBB7_331:
	s_or_b64 exec, exec, s[24:25]
	v_mov_b32_e32 v12, 0
	s_waitcnt lgkmcnt(0)
	s_barrier
	ds_read_b32 v12, v12 offset:49444
	s_movk_i32 s8, 0x800
	s_waitcnt lgkmcnt(0)
	v_cmp_lt_i32_e64 s[8:9], s8, v12
.LBB7_332:
	s_andn2_b64 vcc, exec, s[8:9]
	s_cbranch_vccnz .LBB7_343
; %bb.333:
	v_mov_b32_e32 v12, 0
	ds_write_b32 v29, v12 offset:2112
	ds_write_b32 v11, v12 offset:2048
	s_and_saveexec_b64 s[8:9], s[18:19]
	s_cbranch_execz .LBB7_335
; %bb.334:
	ds_write_b32 v11, v12 offset:4096
.LBB7_335:
	s_or_b64 exec, exec, s[8:9]
	s_and_saveexec_b64 s[8:9], s[16:17]
	s_cbranch_execz .LBB7_337
; %bb.336:
	v_mov_b32_e32 v12, 0
	ds_write_b32 v11, v12 offset:6144
.LBB7_337:
	s_or_b64 exec, exec, s[8:9]
	v_lshlrev_b32_e32 v31, 21, v30
	s_waitcnt lgkmcnt(0)
	s_barrier
	s_and_saveexec_b64 s[8:9], s[4:5]
	s_xor_b64 s[8:9], exec, s[8:9]
	s_cbranch_execz .LBB7_345
; %bb.338:
	v_add_u32_e32 v14, v20, v2
	v_cmp_lt_i32_e32 vcc, v14, v10
	s_and_saveexec_b64 s[24:25], vcc
	s_cbranch_execz .LBB7_344
; %bb.339:
	v_mul_lo_u32 v12, v8, v14
	v_lshlrev_b32_e32 v15, 9, v8
	s_mov_b64 s[26:27], 0
	s_mov_b32 s30, 0x200000
	v_mov_b32_e32 v16, 1
	s_branch .LBB7_341
.LBB7_340:                              ;   in Loop: Header=BB7_341 Depth=1
	s_or_b64 exec, exec, s[28:29]
	v_add_u32_e32 v14, 0x200, v14
	v_cmp_ge_i32_e32 vcc, v14, v10
	s_or_b64 s[26:27], vcc, s[26:27]
	v_add_u32_e32 v12, v12, v15
	s_andn2_b64 exec, exec, s[26:27]
	s_cbranch_execz .LBB7_344
.LBB7_341:                              ; =>This Inner Loop Header: Depth=1
	v_ashrrev_i32_e32 v13, 31, v12
	v_lshlrev_b64 v[18:19], 2, v[12:13]
	v_add_co_u32_e32 v18, vcc, v0, v18
	v_addc_co_u32_e32 v19, vcc, v1, v19, vcc
	flat_load_dword v13, v[18:19]
	s_waitcnt vmcnt(0) lgkmcnt(0)
	v_not_b32_e32 v17, v13
	v_and_b32_e32 v18, 0x7fe00000, v17
	v_cmp_gt_i32_e32 vcc, 0, v13
	v_cndmask_b32_e32 v18, v18, v13, vcc
	v_xor_b32_e32 v18, v18, v31
	v_cmp_gt_u32_e32 vcc, s30, v18
	s_and_saveexec_b64 s[28:29], vcc
	s_cbranch_execz .LBB7_340
; %bb.342:                              ;   in Loop: Header=BB7_341 Depth=1
	v_lshrrev_b32_e32 v13, 10, v13
	v_ashrrev_i32_e32 v17, 31, v17
	v_xor_b32_e32 v13, v13, v17
	v_and_b32_e32 v13, 0x7ff, v13
	v_lshlrev_b32_e32 v13, 2, v13
	ds_add_u32 v13, v16 offset:35168
	s_branch .LBB7_340
.LBB7_343:
	v_mov_b32_e32 v31, 0
	s_mov_b64 s[8:9], -1
	s_cbranch_execnz .LBB7_514
	s_branch .LBB7_549
.LBB7_344:
	s_or_b64 exec, exec, s[24:25]
.LBB7_345:
	s_andn2_saveexec_b64 s[24:25], s[8:9]
	s_cbranch_execz .LBB7_364
; %bb.346:
	v_lshlrev_b64 v[12:13], 2, v[2:3]
	v_add_co_u32_e32 v22, vcc, v0, v12
	v_and_b32_e32 v14, 15, v22
	v_addc_co_u32_e32 v23, vcc, v1, v13, vcc
	v_mov_b32_e32 v15, 0
	v_sub_u32_e32 v16, 16, v14
	v_lshrrev_b32_e32 v16, 2, v16
	v_cmp_ne_u64_e32 vcc, 0, v[14:15]
	v_cndmask_b32_e32 v14, 0, v16, vcc
	v_min_i32_e32 v16, v14, v24
	v_sub_u32_e32 v14, v24, v16
	v_ashrrev_i32_e32 v15, 31, v14
	v_lshrrev_b32_e32 v15, 30, v15
	v_add_u32_e32 v14, v14, v15
	v_ashrrev_i32_e32 v30, 2, v14
	s_mov_b64 s[26:27], 0
	v_ashrrev_i32_e32 v17, 31, v16
	v_cmp_gt_i32_e32 vcc, v30, v20
	s_and_saveexec_b64 s[28:29], vcc
	s_cbranch_execz .LBB7_357
; %bb.347:
	v_lshlrev_b32_e32 v18, 4, v20
	v_lshlrev_b64 v[14:15], 2, v[16:17]
	v_add_co_u32_e32 v14, vcc, v18, v14
	v_addc_co_u32_e32 v15, vcc, 0, v15, vcc
	v_add_co_u32_e32 v12, vcc, v14, v12
	v_addc_co_u32_e32 v13, vcc, v15, v13, vcc
	;; [unrolled: 2-line block ×3, first 2 shown]
	s_mov_b32 s30, 0x200000
	v_mov_b32_e32 v17, 1
	v_mov_b32_e32 v32, v20
	s_branch .LBB7_349
.LBB7_348:                              ;   in Loop: Header=BB7_349 Depth=1
	s_or_b64 exec, exec, s[8:9]
	v_add_u32_e32 v32, 0x200, v32
	v_add_co_u32_e32 v18, vcc, 0x2000, v18
	v_cmp_ge_i32_e64 s[8:9], v32, v30
	s_or_b64 s[26:27], s[8:9], s[26:27]
	v_addc_co_u32_e32 v19, vcc, 0, v19, vcc
	s_andn2_b64 exec, exec, s[26:27]
	s_cbranch_execz .LBB7_357
.LBB7_349:                              ; =>This Inner Loop Header: Depth=1
	flat_load_dwordx4 v[12:15], v[18:19]
	s_waitcnt vmcnt(0) lgkmcnt(0)
	v_not_b32_e32 v33, v12
	v_and_b32_e32 v34, 0x7fe00000, v33
	v_cmp_gt_i32_e32 vcc, 0, v12
	v_cndmask_b32_e32 v34, v34, v12, vcc
	v_xor_b32_e32 v34, v34, v31
	v_cmp_gt_u32_e32 vcc, s30, v34
	s_and_saveexec_b64 s[8:9], vcc
	s_cbranch_execz .LBB7_351
; %bb.350:                              ;   in Loop: Header=BB7_349 Depth=1
	v_lshrrev_b32_e32 v12, 10, v12
	v_ashrrev_i32_e32 v33, 31, v33
	v_xor_b32_e32 v12, v12, v33
	v_and_b32_e32 v12, 0x7ff, v12
	v_lshlrev_b32_e32 v12, 2, v12
	ds_add_u32 v12, v17 offset:35168
.LBB7_351:                              ;   in Loop: Header=BB7_349 Depth=1
	s_or_b64 exec, exec, s[8:9]
	v_not_b32_e32 v12, v13
	v_and_b32_e32 v33, 0x7fe00000, v12
	v_cmp_gt_i32_e32 vcc, 0, v13
	v_cndmask_b32_e32 v33, v33, v13, vcc
	v_xor_b32_e32 v33, v33, v31
	v_cmp_gt_u32_e32 vcc, s30, v33
	s_and_saveexec_b64 s[8:9], vcc
	s_cbranch_execz .LBB7_353
; %bb.352:                              ;   in Loop: Header=BB7_349 Depth=1
	v_lshrrev_b32_e32 v13, 10, v13
	v_ashrrev_i32_e32 v12, 31, v12
	v_xor_b32_e32 v12, v13, v12
	v_and_b32_e32 v12, 0x7ff, v12
	v_lshlrev_b32_e32 v12, 2, v12
	ds_add_u32 v12, v17 offset:35168
.LBB7_353:                              ;   in Loop: Header=BB7_349 Depth=1
	s_or_b64 exec, exec, s[8:9]
	;; [unrolled: 17-line block ×3, first 2 shown]
	v_not_b32_e32 v12, v15
	v_and_b32_e32 v13, 0x7fe00000, v12
	v_cmp_gt_i32_e32 vcc, 0, v15
	v_cndmask_b32_e32 v13, v13, v15, vcc
	v_xor_b32_e32 v13, v13, v31
	v_cmp_gt_u32_e32 vcc, s30, v13
	s_and_saveexec_b64 s[8:9], vcc
	s_cbranch_execz .LBB7_348
; %bb.356:                              ;   in Loop: Header=BB7_349 Depth=1
	v_lshrrev_b32_e32 v13, 10, v15
	v_ashrrev_i32_e32 v12, 31, v12
	v_xor_b32_e32 v12, v13, v12
	v_and_b32_e32 v12, 0x7ff, v12
	v_lshlrev_b32_e32 v12, 2, v12
	ds_add_u32 v12, v17 offset:35168
	s_branch .LBB7_348
.LBB7_357:
	s_or_b64 exec, exec, s[28:29]
	v_cmp_gt_u32_e32 vcc, v16, v20
	s_and_saveexec_b64 s[8:9], vcc
	s_cbranch_execz .LBB7_360
; %bb.358:
	v_add_co_u32_e32 v12, vcc, v22, v21
	v_addc_co_u32_e32 v13, vcc, 0, v23, vcc
	flat_load_dword v12, v[12:13]
	s_mov_b32 s26, 0x200000
	s_waitcnt vmcnt(0) lgkmcnt(0)
	v_not_b32_e32 v13, v12
	v_and_b32_e32 v14, 0x7fe00000, v13
	v_cmp_gt_i32_e32 vcc, 0, v12
	v_cndmask_b32_e32 v14, v14, v12, vcc
	v_xor_b32_e32 v14, v14, v31
	v_cmp_gt_u32_e32 vcc, s26, v14
	s_and_b64 exec, exec, vcc
	s_cbranch_execz .LBB7_360
; %bb.359:
	v_lshrrev_b32_e32 v12, 10, v12
	v_ashrrev_i32_e32 v13, 31, v13
	v_xor_b32_e32 v12, v12, v13
	v_and_b32_e32 v12, 0x7ff, v12
	v_lshlrev_b32_e32 v12, 2, v12
	v_mov_b32_e32 v13, 1
	ds_add_u32 v12, v13 offset:35168
.LBB7_360:
	s_or_b64 exec, exec, s[8:9]
	v_lshlrev_b32_e32 v12, 2, v30
	v_add3_u32 v12, v16, v20, v12
	v_cmp_lt_i32_e32 vcc, v12, v24
	s_and_saveexec_b64 s[8:9], vcc
	s_cbranch_execz .LBB7_363
; %bb.361:
	v_ashrrev_i32_e32 v13, 31, v12
	v_lshlrev_b64 v[12:13], 2, v[12:13]
	v_add_co_u32_e32 v12, vcc, v22, v12
	v_addc_co_u32_e32 v13, vcc, v23, v13, vcc
	flat_load_dword v12, v[12:13]
	s_mov_b32 s26, 0x200000
	s_waitcnt vmcnt(0) lgkmcnt(0)
	v_not_b32_e32 v13, v12
	v_and_b32_e32 v14, 0x7fe00000, v13
	v_cmp_gt_i32_e32 vcc, 0, v12
	v_cndmask_b32_e32 v14, v14, v12, vcc
	v_xor_b32_e32 v14, v14, v31
	v_cmp_gt_u32_e32 vcc, s26, v14
	s_and_b64 exec, exec, vcc
	s_cbranch_execz .LBB7_363
; %bb.362:
	v_lshrrev_b32_e32 v12, 10, v12
	v_ashrrev_i32_e32 v13, 31, v13
	v_xor_b32_e32 v12, v12, v13
	v_and_b32_e32 v12, 0x7ff, v12
	v_lshlrev_b32_e32 v12, 2, v12
	v_mov_b32_e32 v13, 1
	ds_add_u32 v12, v13 offset:35168
.LBB7_363:
	s_or_b64 exec, exec, s[8:9]
.LBB7_364:
	s_or_b64 exec, exec, s[24:25]
	s_waitcnt lgkmcnt(0)
	s_barrier
	v_mov_b32_e32 v13, 0
	ds_read_b32 v14, v29 offset:2112
	ds_read_b32 v12, v13 offset:49448
	s_waitcnt lgkmcnt(0)
	s_barrier
	ds_write_b32 v27, v14
	s_waitcnt lgkmcnt(0)
	s_barrier
	s_and_saveexec_b64 s[8:9], s[10:11]
	s_cbranch_execz .LBB7_366
; %bb.365:
	ds_read2_b32 v[16:17], v25 offset1:1
	ds_read2_b32 v[18:19], v25 offset0:2 offset1:3
	ds_read2_b32 v[22:23], v25 offset0:4 offset1:5
	;; [unrolled: 1-line block ×3, first 2 shown]
	v_mbcnt_lo_u32_b32 v15, -1, 0
	s_waitcnt lgkmcnt(3)
	v_add_u32_e32 v30, v17, v16
	s_waitcnt lgkmcnt(2)
	v_add3_u32 v30, v30, v18, v19
	s_waitcnt lgkmcnt(1)
	v_add3_u32 v30, v30, v22, v23
	v_mbcnt_hi_u32_b32 v15, -1, v15
	s_waitcnt lgkmcnt(0)
	v_add3_u32 v30, v30, v32, v33
	v_and_b32_e32 v34, 15, v15
	v_cmp_ne_u32_e32 vcc, 0, v34
	v_mov_b32_dpp v35, v30 row_shr:1 row_mask:0xf bank_mask:0xf
	v_cndmask_b32_e32 v35, 0, v35, vcc
	v_add_u32_e32 v30, v35, v30
	v_cmp_lt_u32_e32 vcc, 1, v34
	s_nop 0
	v_mov_b32_dpp v35, v30 row_shr:2 row_mask:0xf bank_mask:0xf
	v_cndmask_b32_e32 v35, 0, v35, vcc
	v_add_u32_e32 v30, v30, v35
	v_cmp_lt_u32_e32 vcc, 3, v34
	s_nop 0
	;; [unrolled: 5-line block ×3, first 2 shown]
	v_mov_b32_dpp v35, v30 row_shr:8 row_mask:0xf bank_mask:0xf
	v_cndmask_b32_e32 v34, 0, v35, vcc
	v_add_u32_e32 v30, v30, v34
	v_bfe_i32 v35, v15, 4, 1
	v_cmp_lt_u32_e32 vcc, 31, v15
	v_mov_b32_dpp v34, v30 row_bcast:15 row_mask:0xf bank_mask:0xf
	v_and_b32_e32 v34, v35, v34
	v_add_u32_e32 v30, v30, v34
	v_and_b32_e32 v35, 64, v15
	s_nop 0
	v_mov_b32_dpp v34, v30 row_bcast:31 row_mask:0xf bank_mask:0xf
	v_cndmask_b32_e32 v34, 0, v34, vcc
	v_add_u32_e32 v30, v30, v34
	v_add_u32_e32 v34, -1, v15
	v_cmp_lt_i32_e32 vcc, v34, v35
	v_cndmask_b32_e32 v15, v34, v15, vcc
	v_lshlrev_b32_e32 v15, 2, v15
	ds_bpermute_b32 v15, v15, v30
	s_waitcnt lgkmcnt(0)
	v_add_u32_e32 v15, v15, v16
	v_cndmask_b32_e64 v14, v15, v14, s[22:23]
	v_add_u32_e32 v15, v14, v17
	ds_write2_b32 v25, v14, v15 offset1:1
	v_add_u32_e32 v14, v15, v18
	v_add_u32_e32 v15, v14, v19
	ds_write2_b32 v25, v14, v15 offset0:2 offset1:3
	v_add_u32_e32 v14, v15, v22
	v_add_u32_e32 v15, v14, v23
	ds_write2_b32 v25, v14, v15 offset0:4 offset1:5
	;; [unrolled: 3-line block ×3, first 2 shown]
.LBB7_366:
	s_or_b64 exec, exec, s[8:9]
	s_waitcnt lgkmcnt(0)
	s_barrier
	s_and_saveexec_b64 s[8:9], s[6:7]
	s_cbranch_execz .LBB7_368
; %bb.367:
	ds_read_b32 v13, v26
.LBB7_368:
	s_or_b64 exec, exec, s[8:9]
	v_mov_b32_e32 v14, 0
	ds_read_b32 v15, v14 offset:35160
	s_waitcnt lgkmcnt(1)
	v_add_u32_e32 v13, v13, v12
	v_cmp_lt_i32_e32 vcc, v13, v9
	ds_write_b32 v29, v13 offset:2112
	s_waitcnt lgkmcnt(0)
	v_add_u32_e32 v12, v15, v12
	s_barrier
	s_and_saveexec_b64 s[8:9], vcc
	s_cbranch_execz .LBB7_374
; %bb.369:
	v_mov_b32_e32 v15, v12
	s_and_saveexec_b64 s[24:25], s[12:13]
	s_cbranch_execz .LBB7_371
; %bb.370:
	ds_read_b32 v15, v11 offset:4
.LBB7_371:
	s_or_b64 exec, exec, s[24:25]
	s_waitcnt lgkmcnt(0)
	v_cmp_ge_i32_e32 vcc, v15, v9
	v_mov_b32_e32 v14, 0
	s_and_saveexec_b64 s[24:25], vcc
	s_cbranch_execz .LBB7_373
; %bb.372:
	s_mov_b32 s26, 0xc000
	v_sub_u32_e32 v13, v15, v13
	v_add_u32_e64 v14, s26, 0
	ds_write2_b32 v14, v13, v20 offset0:73 offset1:75
	v_mov_b32_e32 v14, 1
.LBB7_373:
	s_or_b64 exec, exec, s[24:25]
.LBB7_374:
	s_or_b64 exec, exec, s[8:9]
	v_or_b32_dpp v13, v14, v14 row_shl:1 row_mask:0xf bank_mask:0xf bound_ctrl:1
	s_bitcmp1_b32 exec_hi, 0
	s_nop 0
	v_or_b32_dpp v13, v13, v13 row_shl:2 row_mask:0xf bank_mask:0xf bound_ctrl:1
	s_nop 1
	v_or_b32_dpp v13, v13, v13 row_shl:4 row_mask:0xf bank_mask:0xf bound_ctrl:1
	;; [unrolled: 2-line block ×3, first 2 shown]
	s_nop 1
	v_mov_b32_dpp v14, v13 wave_shl:1 row_mask:0xf bank_mask:0xf bound_ctrl:1
	s_nop 1
	v_or_b32_dpp v13, v14, v13 row_mirror row_mask:0xf bank_mask:0xf bound_ctrl:1
	v_readlane_b32 s8, v13, 32
	s_cselect_b32 s8, s8, 0
	v_readlane_b32 s9, v13, 0
	s_or_b32 s26, s8, s9
	v_cndmask_b32_e64 v13, 0, 1, s[54:55]
	v_cmp_ne_u32_e64 s[8:9], 1, v13
	s_andn2_b64 vcc, exec, s[54:55]
	v_mov_b32_e32 v13, s26
	s_cbranch_vccnz .LBB7_381
; %bb.375:
	v_mbcnt_lo_u32_b32 v13, -1, 0
	v_mbcnt_hi_u32_b32 v13, -1, v13
	v_or_b32_e32 v14, v13, v28
	v_cmp_eq_u32_e32 vcc, 0, v14
	s_and_saveexec_b64 s[24:25], vcc
	s_cbranch_execz .LBB7_377
; %bb.376:
	v_mov_b32_e32 v14, 0
	v_mov_b32_e32 v15, s26
	ds_write_b32 v14, v15 offset:32768
.LBB7_377:
	s_or_b64 exec, exec, s[24:25]
	v_cmp_eq_u32_e32 vcc, 0, v13
	s_and_b64 s[28:29], s[14:15], vcc
	s_waitcnt lgkmcnt(0)
	s_barrier
	s_and_saveexec_b64 s[24:25], s[28:29]
	s_cbranch_execz .LBB7_380
; %bb.378:
	v_mbcnt_lo_u32_b32 v13, exec_lo, 0
	v_mbcnt_hi_u32_b32 v13, exec_hi, v13
	v_cmp_eq_u32_e32 vcc, 0, v13
	s_and_b64 exec, exec, vcc
	s_cbranch_execz .LBB7_380
; %bb.379:
	v_mov_b32_e32 v13, 0
	v_mov_b32_e32 v14, s26
	ds_or_b32 v13, v14 offset:32768
.LBB7_380:
	s_or_b64 exec, exec, s[24:25]
	v_mov_b32_e32 v13, 0
	s_waitcnt lgkmcnt(0)
	s_barrier
	ds_read_b32 v13, v13 offset:32768
	s_waitcnt lgkmcnt(0)
	s_barrier
.LBB7_381:
	v_cmp_eq_u32_e32 vcc, 0, v13
	s_cbranch_vccz .LBB7_435
; %bb.382:
	ds_read_b32 v13, v11 offset:2048
	s_waitcnt lgkmcnt(0)
	s_barrier
	ds_write_b32 v27, v13
	s_waitcnt lgkmcnt(0)
	s_barrier
	s_and_saveexec_b64 s[24:25], s[10:11]
	s_cbranch_execz .LBB7_384
; %bb.383:
	ds_read2_b32 v[14:15], v25 offset1:1
	ds_read2_b32 v[16:17], v25 offset0:2 offset1:3
	ds_read2_b32 v[18:19], v25 offset0:4 offset1:5
	;; [unrolled: 1-line block ×3, first 2 shown]
	v_mbcnt_lo_u32_b32 v30, -1, 0
	s_waitcnt lgkmcnt(3)
	v_add_u32_e32 v32, v15, v14
	s_waitcnt lgkmcnt(2)
	v_add3_u32 v32, v32, v16, v17
	s_waitcnt lgkmcnt(1)
	v_add3_u32 v32, v32, v18, v19
	v_mbcnt_hi_u32_b32 v30, -1, v30
	s_waitcnt lgkmcnt(0)
	v_add3_u32 v32, v32, v22, v23
	v_and_b32_e32 v33, 15, v30
	v_cmp_ne_u32_e32 vcc, 0, v33
	v_mov_b32_dpp v34, v32 row_shr:1 row_mask:0xf bank_mask:0xf
	v_cndmask_b32_e32 v34, 0, v34, vcc
	v_add_u32_e32 v32, v34, v32
	v_cmp_lt_u32_e32 vcc, 1, v33
	s_nop 0
	v_mov_b32_dpp v34, v32 row_shr:2 row_mask:0xf bank_mask:0xf
	v_cndmask_b32_e32 v34, 0, v34, vcc
	v_add_u32_e32 v32, v32, v34
	v_cmp_lt_u32_e32 vcc, 3, v33
	s_nop 0
	;; [unrolled: 5-line block ×3, first 2 shown]
	v_mov_b32_dpp v34, v32 row_shr:8 row_mask:0xf bank_mask:0xf
	v_cndmask_b32_e32 v33, 0, v34, vcc
	v_add_u32_e32 v32, v32, v33
	v_bfe_i32 v34, v30, 4, 1
	v_cmp_lt_u32_e32 vcc, 31, v30
	v_mov_b32_dpp v33, v32 row_bcast:15 row_mask:0xf bank_mask:0xf
	v_and_b32_e32 v33, v34, v33
	v_add_u32_e32 v32, v32, v33
	v_and_b32_e32 v34, 64, v30
	s_nop 0
	v_mov_b32_dpp v33, v32 row_bcast:31 row_mask:0xf bank_mask:0xf
	v_cndmask_b32_e32 v33, 0, v33, vcc
	v_add_u32_e32 v32, v32, v33
	v_add_u32_e32 v33, -1, v30
	v_cmp_lt_i32_e32 vcc, v33, v34
	v_cndmask_b32_e32 v30, v33, v30, vcc
	v_lshlrev_b32_e32 v30, 2, v30
	ds_bpermute_b32 v30, v30, v32
	s_waitcnt lgkmcnt(0)
	v_add_u32_e32 v14, v30, v14
	v_cndmask_b32_e64 v13, v14, v13, s[22:23]
	v_add_u32_e32 v14, v13, v15
	ds_write2_b32 v25, v13, v14 offset1:1
	v_add_u32_e32 v13, v14, v16
	v_add_u32_e32 v14, v13, v17
	ds_write2_b32 v25, v13, v14 offset0:2 offset1:3
	v_add_u32_e32 v13, v14, v18
	v_add_u32_e32 v14, v13, v19
	ds_write2_b32 v25, v13, v14 offset0:4 offset1:5
	;; [unrolled: 3-line block ×3, first 2 shown]
.LBB7_384:
	s_or_b64 exec, exec, s[24:25]
	v_mov_b32_e32 v13, 0
	v_mov_b32_e32 v14, 0
	s_waitcnt lgkmcnt(0)
	s_barrier
	s_and_saveexec_b64 s[24:25], s[6:7]
	s_cbranch_execz .LBB7_386
; %bb.385:
	ds_read_b32 v14, v26
.LBB7_386:
	s_or_b64 exec, exec, s[24:25]
	ds_read_b32 v15, v13 offset:35160
	s_waitcnt lgkmcnt(1)
	v_add_u32_e32 v14, v14, v12
	v_cmp_lt_i32_e32 vcc, v14, v9
	ds_write_b32 v11, v14 offset:2048
	s_waitcnt lgkmcnt(0)
	v_add_u32_e32 v12, v15, v12
	s_barrier
	s_and_saveexec_b64 s[24:25], vcc
	s_cbranch_execz .LBB7_392
; %bb.387:
	v_mov_b32_e32 v15, v12
	s_and_saveexec_b64 s[26:27], s[12:13]
	s_cbranch_execz .LBB7_389
; %bb.388:
	ds_read_b32 v15, v11 offset:2052
.LBB7_389:
	s_or_b64 exec, exec, s[26:27]
	s_waitcnt lgkmcnt(0)
	v_cmp_ge_i32_e32 vcc, v15, v9
	v_mov_b32_e32 v13, 0
	s_and_saveexec_b64 s[26:27], vcc
	s_cbranch_execz .LBB7_391
; %bb.390:
	s_mov_b32 s28, 0xc000
	v_add_u32_e32 v13, 0x200, v20
	v_sub_u32_e32 v14, v15, v14
	v_add_u32_e64 v15, s28, 0
	ds_write2_b32 v15, v14, v13 offset0:73 offset1:75
	v_mov_b32_e32 v13, 1
.LBB7_391:
	s_or_b64 exec, exec, s[26:27]
.LBB7_392:
	s_or_b64 exec, exec, s[24:25]
	v_or_b32_dpp v13, v13, v13 row_shl:1 row_mask:0xf bank_mask:0xf bound_ctrl:1
	s_bitcmp1_b32 exec_hi, 0
	s_nop 0
	v_or_b32_dpp v13, v13, v13 row_shl:2 row_mask:0xf bank_mask:0xf bound_ctrl:1
	s_nop 1
	v_or_b32_dpp v13, v13, v13 row_shl:4 row_mask:0xf bank_mask:0xf bound_ctrl:1
	;; [unrolled: 2-line block ×3, first 2 shown]
	s_nop 1
	v_mov_b32_dpp v14, v13 wave_shl:1 row_mask:0xf bank_mask:0xf bound_ctrl:1
	s_nop 1
	v_or_b32_dpp v13, v14, v13 row_mirror row_mask:0xf bank_mask:0xf bound_ctrl:1
	v_readlane_b32 s24, v13, 32
	s_cselect_b32 s24, s24, 0
	v_readlane_b32 s25, v13, 0
	s_or_b32 s26, s24, s25
	s_and_b64 vcc, exec, s[8:9]
	v_mov_b32_e32 v13, s26
	s_cbranch_vccnz .LBB7_399
; %bb.393:
	v_mbcnt_lo_u32_b32 v13, -1, 0
	v_mbcnt_hi_u32_b32 v13, -1, v13
	v_or_b32_e32 v14, v13, v28
	v_cmp_eq_u32_e32 vcc, 0, v14
	s_and_saveexec_b64 s[24:25], vcc
	s_cbranch_execz .LBB7_395
; %bb.394:
	v_mov_b32_e32 v14, 0
	v_mov_b32_e32 v15, s26
	ds_write_b32 v14, v15 offset:32768
.LBB7_395:
	s_or_b64 exec, exec, s[24:25]
	v_cmp_eq_u32_e32 vcc, 0, v13
	s_and_b64 s[28:29], s[14:15], vcc
	s_waitcnt lgkmcnt(0)
	s_barrier
	s_and_saveexec_b64 s[24:25], s[28:29]
	s_cbranch_execz .LBB7_398
; %bb.396:
	v_mbcnt_lo_u32_b32 v13, exec_lo, 0
	v_mbcnt_hi_u32_b32 v13, exec_hi, v13
	v_cmp_eq_u32_e32 vcc, 0, v13
	s_and_b64 exec, exec, vcc
	s_cbranch_execz .LBB7_398
; %bb.397:
	v_mov_b32_e32 v13, 0
	v_mov_b32_e32 v14, s26
	ds_or_b32 v13, v14 offset:32768
.LBB7_398:
	s_or_b64 exec, exec, s[24:25]
	v_mov_b32_e32 v13, 0
	s_waitcnt lgkmcnt(0)
	s_barrier
	ds_read_b32 v13, v13 offset:32768
	s_waitcnt lgkmcnt(0)
	s_barrier
.LBB7_399:
	v_cmp_ne_u32_e32 vcc, 0, v13
	s_cbranch_vccnz .LBB7_435
; %bb.400:
	ds_read_b32 v13, v11 offset:4096
	s_waitcnt lgkmcnt(0)
	s_barrier
	ds_write_b32 v27, v13
	s_waitcnt lgkmcnt(0)
	s_barrier
	s_and_saveexec_b64 s[24:25], s[10:11]
	s_cbranch_execz .LBB7_402
; %bb.401:
	ds_read2_b32 v[14:15], v25 offset1:1
	ds_read2_b32 v[16:17], v25 offset0:2 offset1:3
	ds_read2_b32 v[18:19], v25 offset0:4 offset1:5
	;; [unrolled: 1-line block ×3, first 2 shown]
	v_mbcnt_lo_u32_b32 v30, -1, 0
	s_waitcnt lgkmcnt(3)
	v_add_u32_e32 v32, v15, v14
	s_waitcnt lgkmcnt(2)
	v_add3_u32 v32, v32, v16, v17
	s_waitcnt lgkmcnt(1)
	v_add3_u32 v32, v32, v18, v19
	v_mbcnt_hi_u32_b32 v30, -1, v30
	s_waitcnt lgkmcnt(0)
	v_add3_u32 v32, v32, v22, v23
	v_and_b32_e32 v33, 15, v30
	v_cmp_ne_u32_e32 vcc, 0, v33
	v_mov_b32_dpp v34, v32 row_shr:1 row_mask:0xf bank_mask:0xf
	v_cndmask_b32_e32 v34, 0, v34, vcc
	v_add_u32_e32 v32, v34, v32
	v_cmp_lt_u32_e32 vcc, 1, v33
	s_nop 0
	v_mov_b32_dpp v34, v32 row_shr:2 row_mask:0xf bank_mask:0xf
	v_cndmask_b32_e32 v34, 0, v34, vcc
	v_add_u32_e32 v32, v32, v34
	v_cmp_lt_u32_e32 vcc, 3, v33
	s_nop 0
	;; [unrolled: 5-line block ×3, first 2 shown]
	v_mov_b32_dpp v34, v32 row_shr:8 row_mask:0xf bank_mask:0xf
	v_cndmask_b32_e32 v33, 0, v34, vcc
	v_add_u32_e32 v32, v32, v33
	v_bfe_i32 v34, v30, 4, 1
	v_cmp_lt_u32_e32 vcc, 31, v30
	v_mov_b32_dpp v33, v32 row_bcast:15 row_mask:0xf bank_mask:0xf
	v_and_b32_e32 v33, v34, v33
	v_add_u32_e32 v32, v32, v33
	v_and_b32_e32 v34, 64, v30
	s_nop 0
	v_mov_b32_dpp v33, v32 row_bcast:31 row_mask:0xf bank_mask:0xf
	v_cndmask_b32_e32 v33, 0, v33, vcc
	v_add_u32_e32 v32, v32, v33
	v_add_u32_e32 v33, -1, v30
	v_cmp_lt_i32_e32 vcc, v33, v34
	v_cndmask_b32_e32 v30, v33, v30, vcc
	v_lshlrev_b32_e32 v30, 2, v30
	ds_bpermute_b32 v30, v30, v32
	s_waitcnt lgkmcnt(0)
	v_add_u32_e32 v14, v30, v14
	v_cndmask_b32_e64 v13, v14, v13, s[22:23]
	v_add_u32_e32 v14, v13, v15
	ds_write2_b32 v25, v13, v14 offset1:1
	v_add_u32_e32 v13, v14, v16
	v_add_u32_e32 v14, v13, v17
	ds_write2_b32 v25, v13, v14 offset0:2 offset1:3
	v_add_u32_e32 v13, v14, v18
	v_add_u32_e32 v14, v13, v19
	ds_write2_b32 v25, v13, v14 offset0:4 offset1:5
	;; [unrolled: 3-line block ×3, first 2 shown]
.LBB7_402:
	s_or_b64 exec, exec, s[24:25]
	v_mov_b32_e32 v13, 0
	v_mov_b32_e32 v14, 0
	s_waitcnt lgkmcnt(0)
	s_barrier
	s_and_saveexec_b64 s[24:25], s[6:7]
	s_cbranch_execz .LBB7_404
; %bb.403:
	ds_read_b32 v14, v26
.LBB7_404:
	s_or_b64 exec, exec, s[24:25]
	ds_read_b32 v15, v13 offset:35160
	s_waitcnt lgkmcnt(1)
	v_add_u32_e32 v14, v14, v12
	v_cmp_lt_i32_e32 vcc, v14, v9
	ds_write_b32 v11, v14 offset:4096
	s_waitcnt lgkmcnt(0)
	v_add_u32_e32 v12, v15, v12
	s_barrier
	s_and_saveexec_b64 s[24:25], vcc
	s_cbranch_execz .LBB7_410
; %bb.405:
	v_mov_b32_e32 v15, v12
	s_and_saveexec_b64 s[26:27], s[12:13]
	s_cbranch_execz .LBB7_407
; %bb.406:
	ds_read_b32 v15, v11 offset:4100
.LBB7_407:
	s_or_b64 exec, exec, s[26:27]
	s_waitcnt lgkmcnt(0)
	v_cmp_ge_i32_e32 vcc, v15, v9
	v_mov_b32_e32 v13, 0
	s_and_saveexec_b64 s[26:27], vcc
	s_cbranch_execz .LBB7_409
; %bb.408:
	s_mov_b32 s28, 0xc000
	v_or_b32_e32 v13, 0x400, v20
	v_sub_u32_e32 v14, v15, v14
	v_add_u32_e64 v15, s28, 0
	ds_write2_b32 v15, v14, v13 offset0:73 offset1:75
	v_mov_b32_e32 v13, 1
.LBB7_409:
	s_or_b64 exec, exec, s[26:27]
.LBB7_410:
	s_or_b64 exec, exec, s[24:25]
	v_or_b32_dpp v13, v13, v13 row_shl:1 row_mask:0xf bank_mask:0xf bound_ctrl:1
	s_bitcmp1_b32 exec_hi, 0
	s_nop 0
	v_or_b32_dpp v13, v13, v13 row_shl:2 row_mask:0xf bank_mask:0xf bound_ctrl:1
	s_nop 1
	v_or_b32_dpp v13, v13, v13 row_shl:4 row_mask:0xf bank_mask:0xf bound_ctrl:1
	;; [unrolled: 2-line block ×3, first 2 shown]
	s_nop 1
	v_mov_b32_dpp v14, v13 wave_shl:1 row_mask:0xf bank_mask:0xf bound_ctrl:1
	s_nop 1
	v_or_b32_dpp v13, v14, v13 row_mirror row_mask:0xf bank_mask:0xf bound_ctrl:1
	v_readlane_b32 s24, v13, 32
	s_cselect_b32 s24, s24, 0
	v_readlane_b32 s25, v13, 0
	s_or_b32 s26, s24, s25
	s_and_b64 vcc, exec, s[8:9]
	v_mov_b32_e32 v13, s26
	s_cbranch_vccnz .LBB7_417
; %bb.411:
	v_mbcnt_lo_u32_b32 v13, -1, 0
	v_mbcnt_hi_u32_b32 v13, -1, v13
	v_or_b32_e32 v14, v13, v28
	v_cmp_eq_u32_e32 vcc, 0, v14
	s_and_saveexec_b64 s[24:25], vcc
	s_cbranch_execz .LBB7_413
; %bb.412:
	v_mov_b32_e32 v14, 0
	v_mov_b32_e32 v15, s26
	ds_write_b32 v14, v15 offset:32768
.LBB7_413:
	s_or_b64 exec, exec, s[24:25]
	v_cmp_eq_u32_e32 vcc, 0, v13
	s_and_b64 s[28:29], s[14:15], vcc
	s_waitcnt lgkmcnt(0)
	s_barrier
	s_and_saveexec_b64 s[24:25], s[28:29]
	s_cbranch_execz .LBB7_416
; %bb.414:
	v_mbcnt_lo_u32_b32 v13, exec_lo, 0
	v_mbcnt_hi_u32_b32 v13, exec_hi, v13
	v_cmp_eq_u32_e32 vcc, 0, v13
	s_and_b64 exec, exec, vcc
	s_cbranch_execz .LBB7_416
; %bb.415:
	v_mov_b32_e32 v13, 0
	v_mov_b32_e32 v14, s26
	ds_or_b32 v13, v14 offset:32768
.LBB7_416:
	s_or_b64 exec, exec, s[24:25]
	v_mov_b32_e32 v13, 0
	s_waitcnt lgkmcnt(0)
	s_barrier
	ds_read_b32 v13, v13 offset:32768
	s_waitcnt lgkmcnt(0)
	s_barrier
.LBB7_417:
	v_cmp_ne_u32_e32 vcc, 0, v13
	s_cbranch_vccnz .LBB7_435
; %bb.418:
	ds_read_b32 v13, v11 offset:6144
	s_waitcnt lgkmcnt(0)
	s_barrier
	ds_write_b32 v27, v13
	s_waitcnt lgkmcnt(0)
	s_barrier
	s_and_saveexec_b64 s[24:25], s[10:11]
	s_cbranch_execz .LBB7_420
; %bb.419:
	ds_read2_b32 v[14:15], v25 offset1:1
	ds_read2_b32 v[16:17], v25 offset0:2 offset1:3
	ds_read2_b32 v[18:19], v25 offset0:4 offset1:5
	;; [unrolled: 1-line block ×3, first 2 shown]
	v_mbcnt_lo_u32_b32 v30, -1, 0
	s_waitcnt lgkmcnt(3)
	v_add_u32_e32 v32, v15, v14
	s_waitcnt lgkmcnt(2)
	v_add3_u32 v32, v32, v16, v17
	s_waitcnt lgkmcnt(1)
	v_add3_u32 v32, v32, v18, v19
	v_mbcnt_hi_u32_b32 v30, -1, v30
	s_waitcnt lgkmcnt(0)
	v_add3_u32 v32, v32, v22, v23
	v_and_b32_e32 v33, 15, v30
	v_cmp_ne_u32_e32 vcc, 0, v33
	v_mov_b32_dpp v34, v32 row_shr:1 row_mask:0xf bank_mask:0xf
	v_cndmask_b32_e32 v34, 0, v34, vcc
	v_add_u32_e32 v32, v34, v32
	v_cmp_lt_u32_e32 vcc, 1, v33
	s_nop 0
	v_mov_b32_dpp v34, v32 row_shr:2 row_mask:0xf bank_mask:0xf
	v_cndmask_b32_e32 v34, 0, v34, vcc
	v_add_u32_e32 v32, v32, v34
	v_cmp_lt_u32_e32 vcc, 3, v33
	s_nop 0
	;; [unrolled: 5-line block ×3, first 2 shown]
	v_mov_b32_dpp v34, v32 row_shr:8 row_mask:0xf bank_mask:0xf
	v_cndmask_b32_e32 v33, 0, v34, vcc
	v_add_u32_e32 v32, v32, v33
	v_bfe_i32 v34, v30, 4, 1
	v_cmp_lt_u32_e32 vcc, 31, v30
	v_mov_b32_dpp v33, v32 row_bcast:15 row_mask:0xf bank_mask:0xf
	v_and_b32_e32 v33, v34, v33
	v_add_u32_e32 v32, v32, v33
	v_and_b32_e32 v34, 64, v30
	s_nop 0
	v_mov_b32_dpp v33, v32 row_bcast:31 row_mask:0xf bank_mask:0xf
	v_cndmask_b32_e32 v33, 0, v33, vcc
	v_add_u32_e32 v32, v32, v33
	v_add_u32_e32 v33, -1, v30
	v_cmp_lt_i32_e32 vcc, v33, v34
	v_cndmask_b32_e32 v30, v33, v30, vcc
	v_lshlrev_b32_e32 v30, 2, v30
	ds_bpermute_b32 v30, v30, v32
	s_waitcnt lgkmcnt(0)
	v_add_u32_e32 v14, v30, v14
	v_cndmask_b32_e64 v13, v14, v13, s[22:23]
	v_add_u32_e32 v14, v13, v15
	ds_write2_b32 v25, v13, v14 offset1:1
	v_add_u32_e32 v13, v14, v16
	v_add_u32_e32 v14, v13, v17
	ds_write2_b32 v25, v13, v14 offset0:2 offset1:3
	v_add_u32_e32 v13, v14, v18
	v_add_u32_e32 v14, v13, v19
	ds_write2_b32 v25, v13, v14 offset0:4 offset1:5
	;; [unrolled: 3-line block ×3, first 2 shown]
.LBB7_420:
	s_or_b64 exec, exec, s[24:25]
	v_mov_b32_e32 v13, 0
	v_mov_b32_e32 v14, 0
	s_waitcnt lgkmcnt(0)
	s_barrier
	s_and_saveexec_b64 s[24:25], s[6:7]
	s_cbranch_execz .LBB7_422
; %bb.421:
	ds_read_b32 v14, v26
.LBB7_422:
	s_or_b64 exec, exec, s[24:25]
	ds_read_b32 v15, v13 offset:35160
	s_waitcnt lgkmcnt(1)
	v_add_u32_e32 v14, v14, v12
	v_cmp_lt_i32_e32 vcc, v14, v9
	ds_write_b32 v11, v14 offset:6144
	s_waitcnt lgkmcnt(0)
	s_barrier
	s_and_saveexec_b64 s[24:25], vcc
	s_cbranch_execz .LBB7_428
; %bb.423:
	v_add_u32_e32 v12, v15, v12
	s_and_saveexec_b64 s[26:27], s[12:13]
	s_cbranch_execz .LBB7_425
; %bb.424:
	ds_read_b32 v12, v11 offset:6148
.LBB7_425:
	s_or_b64 exec, exec, s[26:27]
	s_waitcnt lgkmcnt(0)
	v_cmp_ge_i32_e32 vcc, v12, v9
	v_mov_b32_e32 v13, 0
	s_and_saveexec_b64 s[26:27], vcc
	s_cbranch_execz .LBB7_427
; %bb.426:
	s_mov_b32 s28, 0xc000
	v_add_u32_e32 v13, 0x600, v20
	v_sub_u32_e32 v12, v12, v14
	v_add_u32_e64 v14, s28, 0
	ds_write2_b32 v14, v12, v13 offset0:73 offset1:75
	v_mov_b32_e32 v13, 1
.LBB7_427:
	s_or_b64 exec, exec, s[26:27]
.LBB7_428:
	s_or_b64 exec, exec, s[24:25]
	v_or_b32_dpp v12, v13, v13 row_shl:1 row_mask:0xf bank_mask:0xf bound_ctrl:1
	s_and_b64 vcc, exec, s[8:9]
	s_nop 0
	v_or_b32_dpp v12, v12, v12 row_shl:2 row_mask:0xf bank_mask:0xf bound_ctrl:1
	s_nop 1
	v_or_b32_dpp v12, v12, v12 row_shl:4 row_mask:0xf bank_mask:0xf bound_ctrl:1
	;; [unrolled: 2-line block ×3, first 2 shown]
	s_nop 1
	v_mov_b32_dpp v13, v12 wave_shl:1 row_mask:0xf bank_mask:0xf bound_ctrl:1
	s_nop 1
	v_or_b32_dpp v12, v13, v12 row_mirror row_mask:0xf bank_mask:0xf bound_ctrl:1
	v_readlane_b32 s24, v12, 32
	v_readlane_b32 s8, v12, 0
	s_cbranch_vccnz .LBB7_435
; %bb.429:
	v_mbcnt_lo_u32_b32 v12, -1, 0
	s_bitcmp1_b32 exec_hi, 0
	v_mbcnt_hi_u32_b32 v12, -1, v12
	s_cselect_b32 s9, s24, 0
	v_or_b32_e32 v13, v12, v28
	s_or_b32 s24, s9, s8
	v_cmp_eq_u32_e32 vcc, 0, v13
	s_and_saveexec_b64 s[8:9], vcc
	s_cbranch_execz .LBB7_431
; %bb.430:
	v_mov_b32_e32 v13, 0
	v_mov_b32_e32 v14, s24
	ds_write_b32 v13, v14 offset:32768
.LBB7_431:
	s_or_b64 exec, exec, s[8:9]
	v_cmp_eq_u32_e32 vcc, 0, v12
	s_and_b64 s[26:27], s[14:15], vcc
	s_waitcnt lgkmcnt(0)
	s_barrier
	s_and_saveexec_b64 s[8:9], s[26:27]
	s_cbranch_execz .LBB7_434
; %bb.432:
	v_mbcnt_lo_u32_b32 v12, exec_lo, 0
	v_mbcnt_hi_u32_b32 v12, exec_hi, v12
	v_cmp_eq_u32_e32 vcc, 0, v12
	s_and_b64 exec, exec, vcc
	s_cbranch_execz .LBB7_434
; %bb.433:
	v_mov_b32_e32 v12, 0
	v_mov_b32_e32 v13, s24
	ds_or_b32 v12, v13 offset:32768
.LBB7_434:
	s_or_b64 exec, exec, s[8:9]
	v_mov_b32_e32 v12, 0
	s_waitcnt lgkmcnt(0)
	s_barrier
	ds_read_b32 v12, v12 offset:32768
	s_waitcnt lgkmcnt(0)
	s_barrier
.LBB7_435:
	v_mov_b32_e32 v12, 0
	s_waitcnt lgkmcnt(0)
	s_barrier
	ds_read_b32 v30, v12 offset:49452
	s_and_saveexec_b64 s[8:9], s[4:5]
	s_xor_b64 s[8:9], exec, s[8:9]
	s_cbranch_execz .LBB7_449
; %bb.436:
	v_add_u32_e32 v14, v20, v2
	v_cmp_lt_i32_e32 vcc, v14, v10
	s_and_saveexec_b64 s[24:25], vcc
	s_cbranch_execz .LBB7_448
; %bb.437:
	s_ashr_i32 s51, s50, 31
	s_lshl_b64 s[26:27], s[50:51], 2
	s_getpc_b64 s[28:29]
	s_add_u32 s28, s28, llvm.amdgcn.dynlds.offset.table@rel32@lo+4
	s_addc_u32 s29, s29, llvm.amdgcn.dynlds.offset.table@rel32@hi+12
	v_mov_b32_e32 v15, 0
	s_add_u32 s26, s26, s28
	ds_read_b32 v12, v15 offset:49444
	s_addc_u32 s27, s27, s29
	s_load_dword s40, s[26:27], 0x0
	v_lshl_add_u32 v17, v2, 1, v20
	v_lshlrev_b32_e32 v18, 9, v8
	s_waitcnt lgkmcnt(0)
	v_readfirstlane_b32 s26, v12
	s_cmpk_lt_i32 s26, 0x801
	v_lshl_add_u32 v16, v9, 2, s40
	s_cselect_b64 s[26:27], -1, 0
	v_mul_lo_u32 v12, v8, v14
	s_mov_b64 s[28:29], 0
	s_mov_b32 s41, 0x200000
	s_branch .LBB7_440
.LBB7_438:                              ;   in Loop: Header=BB7_440 Depth=1
	s_or_b64 exec, exec, s[34:35]
	s_waitcnt lgkmcnt(0)
	v_readfirstlane_b32 vcc_lo, v22
	v_add_lshl_u32 v19, vcc_lo, v19, 2
	v_add_u32_e32 v19, 32, v19
	ds_write2st64_b32 v19, v17, v13 offset0:129 offset1:161
.LBB7_439:                              ;   in Loop: Header=BB7_440 Depth=1
	s_or_b64 exec, exec, s[30:31]
	v_add_u32_e32 v14, 0x200, v14
	v_cmp_ge_i32_e32 vcc, v14, v10
	v_add_u32_e32 v17, 0x200, v17
	s_or_b64 s[28:29], vcc, s[28:29]
	v_add_u32_e32 v12, v12, v18
	s_andn2_b64 exec, exec, s[28:29]
	s_cbranch_execz .LBB7_448
.LBB7_440:                              ; =>This Inner Loop Header: Depth=1
	v_ashrrev_i32_e32 v13, 31, v12
	v_lshlrev_b64 v[22:23], 2, v[12:13]
	v_add_co_u32_e32 v22, vcc, v0, v22
	v_addc_co_u32_e32 v23, vcc, v1, v23, vcc
	flat_load_dword v13, v[22:23]
	s_waitcnt vmcnt(0) lgkmcnt(0)
	v_not_b32_e32 v19, v13
	v_and_b32_e32 v22, 0x7fe00000, v19
	v_cmp_gt_i32_e32 vcc, 0, v13
	v_cndmask_b32_e32 v22, v22, v13, vcc
	v_xor_b32_e32 v22, v22, v31
	v_cmp_gt_u32_e32 vcc, s41, v22
	s_and_saveexec_b64 s[30:31], vcc
	s_cbranch_execz .LBB7_439
; %bb.441:                              ;   in Loop: Header=BB7_440 Depth=1
	v_lshrrev_b32_e32 v22, 10, v13
	v_ashrrev_i32_e32 v19, 31, v19
	v_xor_b32_e32 v19, v22, v19
	v_and_b32_e32 v19, 0x7ff, v19
	v_cmp_lt_u32_e32 vcc, v19, v30
	s_and_saveexec_b64 s[34:35], vcc
	s_cbranch_execz .LBB7_445
; %bb.442:                              ;   in Loop: Header=BB7_440 Depth=1
	s_mov_b64 s[38:39], exec
	v_mbcnt_lo_u32_b32 v22, s38, 0
	v_mbcnt_hi_u32_b32 v22, s39, v22
	v_cmp_eq_u32_e32 vcc, 0, v22
                                        ; implicit-def: $vgpr23
	s_and_saveexec_b64 s[36:37], vcc
	s_cbranch_execz .LBB7_444
; %bb.443:                              ;   in Loop: Header=BB7_440 Depth=1
	s_bcnt1_i32_b64 vcc_lo, s[38:39]
	v_mov_b32_e32 v23, vcc_lo
	ds_add_rtn_u32 v23, v15, v23 offset:49448
.LBB7_444:                              ;   in Loop: Header=BB7_440 Depth=1
	s_or_b64 exec, exec, s[36:37]
	s_waitcnt lgkmcnt(0)
	v_readfirstlane_b32 vcc_lo, v23
	v_add_lshl_u32 v22, vcc_lo, v22, 2
	v_add_u32_e32 v23, s40, v22
	v_add_u32_e32 v22, v16, v22
	ds_write_b32 v23, v17
	ds_write_b32 v22, v13
.LBB7_445:                              ;   in Loop: Header=BB7_440 Depth=1
	s_or_b64 exec, exec, s[34:35]
	v_cmp_eq_u32_e32 vcc, v19, v30
	s_and_b64 vcc, vcc, s[26:27]
	s_and_b64 exec, exec, vcc
	s_cbranch_execz .LBB7_439
; %bb.446:                              ;   in Loop: Header=BB7_440 Depth=1
	s_mov_b64 s[36:37], exec
	v_mbcnt_lo_u32_b32 v19, s36, 0
	v_mbcnt_hi_u32_b32 v19, s37, v19
	v_cmp_eq_u32_e32 vcc, 0, v19
                                        ; implicit-def: $vgpr22
	s_and_saveexec_b64 s[34:35], vcc
	s_cbranch_execz .LBB7_438
; %bb.447:                              ;   in Loop: Header=BB7_440 Depth=1
	s_bcnt1_i32_b64 vcc_lo, s[36:37]
	v_mov_b32_e32 v22, vcc_lo
	ds_add_rtn_u32 v22, v15, v22 offset:49440
	s_branch .LBB7_438
.LBB7_448:
	s_or_b64 exec, exec, s[24:25]
.LBB7_449:
	s_andn2_saveexec_b64 s[24:25], s[8:9]
	s_cbranch_execz .LBB7_513
; %bb.450:
	v_lshlrev_b64 v[12:13], 2, v[2:3]
	v_add_co_u32_e32 v32, vcc, v0, v12
	v_and_b32_e32 v18, 15, v32
	v_mov_b32_e32 v19, 0
	v_addc_co_u32_e32 v33, vcc, v1, v13, vcc
	v_sub_u32_e32 v14, 16, v18
	v_lshrrev_b32_e32 v14, 2, v14
	v_cmp_ne_u64_e32 vcc, 0, v[18:19]
	v_cndmask_b32_e32 v14, 0, v14, vcc
	v_min_i32_e32 v16, v14, v24
	v_sub_u32_e32 v14, v24, v16
	v_ashrrev_i32_e32 v15, 31, v14
	v_lshrrev_b32_e32 v15, 30, v15
	v_add_u32_e32 v14, v14, v15
	v_ashrrev_i32_e32 v18, 2, v14
	s_mov_b64 s[26:27], 0
	v_ashrrev_i32_e32 v17, 31, v16
	v_cmp_gt_i32_e32 vcc, v18, v20
	s_and_saveexec_b64 s[28:29], vcc
	s_cbranch_execz .LBB7_492
; %bb.451:
	s_ashr_i32 s51, s50, 31
	ds_read_b32 v14, v19 offset:49444
	s_lshl_b64 s[8:9], s[50:51], 2
	s_getpc_b64 vcc
	s_add_u32 vcc_lo, vcc_lo, llvm.amdgcn.dynlds.offset.table@rel32@lo+4
	s_addc_u32 vcc_hi, vcc_hi, llvm.amdgcn.dynlds.offset.table@rel32@hi+12
	s_add_u32 s8, s8, vcc_lo
	s_addc_u32 s9, s9, vcc_hi
	s_load_dword s40, s[8:9], 0x0
	s_waitcnt lgkmcnt(0)
	v_readfirstlane_b32 s8, v14
	v_lshlrev_b32_e32 v22, 4, v20
	v_lshlrev_b64 v[14:15], 2, v[16:17]
	v_add_co_u32_e32 v14, vcc, v22, v14
	v_addc_co_u32_e32 v15, vcc, 0, v15, vcc
	v_add_co_u32_e32 v12, vcc, v14, v12
	v_addc_co_u32_e32 v13, vcc, v15, v13, vcc
	s_cmpk_lt_i32 s8, 0x801
	v_add_co_u32_e32 v22, vcc, v0, v12
	v_lshl_add_u32 v34, v9, 2, s40
	s_cselect_b64 s[30:31], -1, 0
	v_add3_u32 v35, v2, v16, v21
	v_addc_co_u32_e32 v23, vcc, v1, v13, vcc
	v_mov_b32_e32 v36, s40
	s_mov_b32 s41, 0x200000
	v_mov_b32_e32 v17, v20
	s_branch .LBB7_455
.LBB7_452:                              ;   in Loop: Header=BB7_455 Depth=1
	s_or_b64 exec, exec, s[36:37]
	s_waitcnt lgkmcnt(0)
	v_readfirstlane_b32 vcc_lo, v13
	v_add_lshl_u32 v12, vcc_lo, v12, 2
	v_add_u32_e32 v13, 3, v35
	v_add_u32_e32 v12, 32, v12
	ds_write2st64_b32 v12, v13, v15 offset0:129 offset1:161
.LBB7_453:                              ;   in Loop: Header=BB7_455 Depth=1
	s_or_b64 exec, exec, s[34:35]
.LBB7_454:                              ;   in Loop: Header=BB7_455 Depth=1
	s_or_b64 exec, exec, s[8:9]
	v_add_u32_e32 v17, 0x200, v17
	v_add_co_u32_e32 v22, vcc, 0x2000, v22
	v_cmp_ge_i32_e64 s[8:9], v17, v18
	v_add_u32_e32 v35, 0x800, v35
	s_or_b64 s[26:27], s[8:9], s[26:27]
	v_addc_co_u32_e32 v23, vcc, 0, v23, vcc
	s_andn2_b64 exec, exec, s[26:27]
	s_cbranch_execz .LBB7_492
.LBB7_455:                              ; =>This Inner Loop Header: Depth=1
	flat_load_dwordx4 v[12:15], v[22:23]
	s_waitcnt vmcnt(0) lgkmcnt(0)
	v_not_b32_e32 v37, v12
	v_and_b32_e32 v38, 0x7fe00000, v37
	v_cmp_gt_i32_e32 vcc, 0, v12
	v_cndmask_b32_e32 v38, v38, v12, vcc
	v_xor_b32_e32 v38, v38, v31
	v_cmp_gt_u32_e32 vcc, s41, v38
	s_and_saveexec_b64 s[8:9], vcc
	s_cbranch_execz .LBB7_464
; %bb.456:                              ;   in Loop: Header=BB7_455 Depth=1
	v_lshrrev_b32_e32 v38, 10, v12
	v_ashrrev_i32_e32 v37, 31, v37
	v_xor_b32_e32 v37, v38, v37
	v_and_b32_e32 v37, 0x7ff, v37
	v_cmp_lt_u32_e32 vcc, v37, v30
	s_and_saveexec_b64 s[34:35], vcc
	s_cbranch_execz .LBB7_460
; %bb.457:                              ;   in Loop: Header=BB7_455 Depth=1
	s_mov_b64 s[38:39], exec
	v_mbcnt_lo_u32_b32 v38, s38, 0
	v_mbcnt_hi_u32_b32 v38, s39, v38
	v_cmp_eq_u32_e32 vcc, 0, v38
                                        ; implicit-def: $vgpr39
	s_and_saveexec_b64 s[36:37], vcc
	s_cbranch_execz .LBB7_459
; %bb.458:                              ;   in Loop: Header=BB7_455 Depth=1
	s_bcnt1_i32_b64 vcc_lo, s[38:39]
	v_mov_b32_e32 v39, vcc_lo
	ds_add_rtn_u32 v39, v19, v39 offset:49448
.LBB7_459:                              ;   in Loop: Header=BB7_455 Depth=1
	s_or_b64 exec, exec, s[36:37]
	s_waitcnt lgkmcnt(0)
	v_readfirstlane_b32 vcc_lo, v39
	v_add_lshl_u32 v38, vcc_lo, v38, 2
	v_add_u32_e32 v39, v36, v38
	v_add_u32_e32 v38, v34, v38
	ds_write_b32 v39, v35
	ds_write_b32 v38, v12
.LBB7_460:                              ;   in Loop: Header=BB7_455 Depth=1
	s_or_b64 exec, exec, s[34:35]
	v_cmp_eq_u32_e32 vcc, v37, v30
	s_and_b64 vcc, vcc, s[30:31]
	s_and_b64 exec, exec, vcc
	s_cbranch_execz .LBB7_464
; %bb.461:                              ;   in Loop: Header=BB7_455 Depth=1
	s_mov_b64 s[36:37], exec
	v_mbcnt_lo_u32_b32 v37, s36, 0
	v_mbcnt_hi_u32_b32 v37, s37, v37
	v_cmp_eq_u32_e32 vcc, 0, v37
                                        ; implicit-def: $vgpr38
	s_and_saveexec_b64 s[34:35], vcc
	s_cbranch_execz .LBB7_463
; %bb.462:                              ;   in Loop: Header=BB7_455 Depth=1
	s_bcnt1_i32_b64 vcc_lo, s[36:37]
	v_mov_b32_e32 v38, vcc_lo
	ds_add_rtn_u32 v38, v19, v38 offset:49440
.LBB7_463:                              ;   in Loop: Header=BB7_455 Depth=1
	s_or_b64 exec, exec, s[34:35]
	s_waitcnt lgkmcnt(0)
	v_readfirstlane_b32 vcc_lo, v38
	v_add_lshl_u32 v37, vcc_lo, v37, 2
	v_add_u32_e32 v37, 32, v37
	ds_write2st64_b32 v37, v35, v12 offset0:129 offset1:161
.LBB7_464:                              ;   in Loop: Header=BB7_455 Depth=1
	s_or_b64 exec, exec, s[8:9]
	v_not_b32_e32 v12, v13
	v_and_b32_e32 v37, 0x7fe00000, v12
	v_cmp_gt_i32_e32 vcc, 0, v13
	v_cndmask_b32_e32 v37, v37, v13, vcc
	v_xor_b32_e32 v37, v37, v31
	v_cmp_gt_u32_e32 vcc, s41, v37
	s_and_saveexec_b64 s[8:9], vcc
	s_cbranch_execz .LBB7_474
; %bb.465:                              ;   in Loop: Header=BB7_455 Depth=1
	v_lshrrev_b32_e32 v37, 10, v13
	v_ashrrev_i32_e32 v12, 31, v12
	v_xor_b32_e32 v12, v37, v12
	v_and_b32_e32 v12, 0x7ff, v12
	v_cmp_lt_u32_e32 vcc, v12, v30
	s_and_saveexec_b64 s[34:35], vcc
	s_cbranch_execz .LBB7_469
; %bb.466:                              ;   in Loop: Header=BB7_455 Depth=1
	s_mov_b64 s[38:39], exec
	v_mbcnt_lo_u32_b32 v37, s38, 0
	v_mbcnt_hi_u32_b32 v37, s39, v37
	v_cmp_eq_u32_e32 vcc, 0, v37
                                        ; implicit-def: $vgpr38
	s_and_saveexec_b64 s[36:37], vcc
	s_cbranch_execz .LBB7_468
; %bb.467:                              ;   in Loop: Header=BB7_455 Depth=1
	s_bcnt1_i32_b64 vcc_lo, s[38:39]
	v_mov_b32_e32 v38, vcc_lo
	ds_add_rtn_u32 v38, v19, v38 offset:49448
.LBB7_468:                              ;   in Loop: Header=BB7_455 Depth=1
	s_or_b64 exec, exec, s[36:37]
	s_waitcnt lgkmcnt(0)
	v_readfirstlane_b32 vcc_lo, v38
	v_add_lshl_u32 v37, vcc_lo, v37, 2
	v_add_u32_e32 v38, 1, v35
	v_add_u32_e32 v39, v36, v37
	;; [unrolled: 1-line block ×3, first 2 shown]
	ds_write_b32 v39, v38
	ds_write_b32 v37, v13
.LBB7_469:                              ;   in Loop: Header=BB7_455 Depth=1
	s_or_b64 exec, exec, s[34:35]
	v_cmp_eq_u32_e32 vcc, v12, v30
	s_and_b64 vcc, vcc, s[30:31]
	s_and_saveexec_b64 s[34:35], vcc
	s_cbranch_execz .LBB7_473
; %bb.470:                              ;   in Loop: Header=BB7_455 Depth=1
	s_mov_b64 s[38:39], exec
	v_mbcnt_lo_u32_b32 v12, s38, 0
	v_mbcnt_hi_u32_b32 v12, s39, v12
	v_cmp_eq_u32_e32 vcc, 0, v12
                                        ; implicit-def: $vgpr37
	s_and_saveexec_b64 s[36:37], vcc
	s_cbranch_execz .LBB7_472
; %bb.471:                              ;   in Loop: Header=BB7_455 Depth=1
	s_bcnt1_i32_b64 vcc_lo, s[38:39]
	v_mov_b32_e32 v37, vcc_lo
	ds_add_rtn_u32 v37, v19, v37 offset:49440
.LBB7_472:                              ;   in Loop: Header=BB7_455 Depth=1
	s_or_b64 exec, exec, s[36:37]
	s_waitcnt lgkmcnt(0)
	v_readfirstlane_b32 vcc_lo, v37
	v_add_lshl_u32 v12, vcc_lo, v12, 2
	v_add_u32_e32 v37, 1, v35
	v_add_u32_e32 v12, 32, v12
	ds_write2st64_b32 v12, v37, v13 offset0:129 offset1:161
.LBB7_473:                              ;   in Loop: Header=BB7_455 Depth=1
	s_or_b64 exec, exec, s[34:35]
.LBB7_474:                              ;   in Loop: Header=BB7_455 Depth=1
	s_or_b64 exec, exec, s[8:9]
	v_not_b32_e32 v12, v14
	v_and_b32_e32 v13, 0x7fe00000, v12
	v_cmp_gt_i32_e32 vcc, 0, v14
	v_cndmask_b32_e32 v13, v13, v14, vcc
	v_xor_b32_e32 v13, v13, v31
	v_cmp_gt_u32_e32 vcc, s41, v13
	s_and_saveexec_b64 s[8:9], vcc
	s_cbranch_execz .LBB7_484
; %bb.475:                              ;   in Loop: Header=BB7_455 Depth=1
	v_lshrrev_b32_e32 v13, 10, v14
	v_ashrrev_i32_e32 v12, 31, v12
	v_xor_b32_e32 v12, v13, v12
	v_and_b32_e32 v12, 0x7ff, v12
	v_cmp_lt_u32_e32 vcc, v12, v30
	s_and_saveexec_b64 s[34:35], vcc
	s_cbranch_execz .LBB7_479
; %bb.476:                              ;   in Loop: Header=BB7_455 Depth=1
	s_mov_b64 s[38:39], exec
	v_mbcnt_lo_u32_b32 v13, s38, 0
	v_mbcnt_hi_u32_b32 v13, s39, v13
	v_cmp_eq_u32_e32 vcc, 0, v13
                                        ; implicit-def: $vgpr37
	s_and_saveexec_b64 s[36:37], vcc
	s_cbranch_execz .LBB7_478
; %bb.477:                              ;   in Loop: Header=BB7_455 Depth=1
	s_bcnt1_i32_b64 vcc_lo, s[38:39]
	v_mov_b32_e32 v37, vcc_lo
	ds_add_rtn_u32 v37, v19, v37 offset:49448
.LBB7_478:                              ;   in Loop: Header=BB7_455 Depth=1
	s_or_b64 exec, exec, s[36:37]
	s_waitcnt lgkmcnt(0)
	v_readfirstlane_b32 vcc_lo, v37
	v_add_lshl_u32 v13, vcc_lo, v13, 2
	v_add_u32_e32 v37, 2, v35
	v_add_u32_e32 v38, v36, v13
	;; [unrolled: 1-line block ×3, first 2 shown]
	ds_write_b32 v38, v37
	ds_write_b32 v13, v14
.LBB7_479:                              ;   in Loop: Header=BB7_455 Depth=1
	s_or_b64 exec, exec, s[34:35]
	v_cmp_eq_u32_e32 vcc, v12, v30
	s_and_b64 vcc, vcc, s[30:31]
	s_and_saveexec_b64 s[34:35], vcc
	s_cbranch_execz .LBB7_483
; %bb.480:                              ;   in Loop: Header=BB7_455 Depth=1
	s_mov_b64 s[38:39], exec
	v_mbcnt_lo_u32_b32 v12, s38, 0
	v_mbcnt_hi_u32_b32 v12, s39, v12
	v_cmp_eq_u32_e32 vcc, 0, v12
                                        ; implicit-def: $vgpr13
	s_and_saveexec_b64 s[36:37], vcc
	s_cbranch_execz .LBB7_482
; %bb.481:                              ;   in Loop: Header=BB7_455 Depth=1
	s_bcnt1_i32_b64 vcc_lo, s[38:39]
	v_mov_b32_e32 v13, vcc_lo
	ds_add_rtn_u32 v13, v19, v13 offset:49440
.LBB7_482:                              ;   in Loop: Header=BB7_455 Depth=1
	s_or_b64 exec, exec, s[36:37]
	s_waitcnt lgkmcnt(0)
	v_readfirstlane_b32 vcc_lo, v13
	v_add_lshl_u32 v12, vcc_lo, v12, 2
	v_add_u32_e32 v13, 2, v35
	v_add_u32_e32 v12, 32, v12
	ds_write2st64_b32 v12, v13, v14 offset0:129 offset1:161
.LBB7_483:                              ;   in Loop: Header=BB7_455 Depth=1
	s_or_b64 exec, exec, s[34:35]
.LBB7_484:                              ;   in Loop: Header=BB7_455 Depth=1
	s_or_b64 exec, exec, s[8:9]
	v_not_b32_e32 v12, v15
	v_and_b32_e32 v13, 0x7fe00000, v12
	v_cmp_gt_i32_e32 vcc, 0, v15
	v_cndmask_b32_e32 v13, v13, v15, vcc
	v_xor_b32_e32 v13, v13, v31
	v_cmp_gt_u32_e32 vcc, s41, v13
	s_and_saveexec_b64 s[8:9], vcc
	s_cbranch_execz .LBB7_454
; %bb.485:                              ;   in Loop: Header=BB7_455 Depth=1
	v_lshrrev_b32_e32 v13, 10, v15
	v_ashrrev_i32_e32 v12, 31, v12
	v_xor_b32_e32 v12, v13, v12
	v_and_b32_e32 v12, 0x7ff, v12
	v_cmp_lt_u32_e32 vcc, v12, v30
	s_and_saveexec_b64 s[34:35], vcc
	s_cbranch_execz .LBB7_489
; %bb.486:                              ;   in Loop: Header=BB7_455 Depth=1
	s_mov_b64 s[38:39], exec
	v_mbcnt_lo_u32_b32 v13, s38, 0
	v_mbcnt_hi_u32_b32 v13, s39, v13
	v_cmp_eq_u32_e32 vcc, 0, v13
                                        ; implicit-def: $vgpr14
	s_and_saveexec_b64 s[36:37], vcc
	s_cbranch_execz .LBB7_488
; %bb.487:                              ;   in Loop: Header=BB7_455 Depth=1
	s_bcnt1_i32_b64 vcc_lo, s[38:39]
	v_mov_b32_e32 v14, vcc_lo
	ds_add_rtn_u32 v14, v19, v14 offset:49448
.LBB7_488:                              ;   in Loop: Header=BB7_455 Depth=1
	s_or_b64 exec, exec, s[36:37]
	s_waitcnt lgkmcnt(0)
	v_readfirstlane_b32 vcc_lo, v14
	v_add_lshl_u32 v13, vcc_lo, v13, 2
	v_add_u32_e32 v14, 3, v35
	v_add_u32_e32 v36, s40, v13
	ds_write_b32 v36, v14
	v_add_u32_e32 v13, v34, v13
	v_mov_b32_e32 v36, s40
	ds_write_b32 v13, v15
.LBB7_489:                              ;   in Loop: Header=BB7_455 Depth=1
	s_or_b64 exec, exec, s[34:35]
	v_cmp_eq_u32_e32 vcc, v12, v30
	s_and_b64 vcc, vcc, s[30:31]
	s_and_saveexec_b64 s[34:35], vcc
	s_cbranch_execz .LBB7_453
; %bb.490:                              ;   in Loop: Header=BB7_455 Depth=1
	s_mov_b64 s[38:39], exec
	v_mbcnt_lo_u32_b32 v12, s38, 0
	v_mbcnt_hi_u32_b32 v12, s39, v12
	v_cmp_eq_u32_e32 vcc, 0, v12
                                        ; implicit-def: $vgpr13
	s_and_saveexec_b64 s[36:37], vcc
	s_cbranch_execz .LBB7_452
; %bb.491:                              ;   in Loop: Header=BB7_455 Depth=1
	s_bcnt1_i32_b64 vcc_lo, s[38:39]
	v_mov_b32_e32 v13, vcc_lo
	ds_add_rtn_u32 v13, v19, v13 offset:49440
	s_branch .LBB7_452
.LBB7_492:
	s_or_b64 exec, exec, s[28:29]
	v_cmp_gt_u32_e32 vcc, v16, v20
	s_and_saveexec_b64 s[8:9], vcc
	s_cbranch_execz .LBB7_502
; %bb.493:
	v_add_co_u32_e32 v12, vcc, v32, v21
	v_addc_co_u32_e32 v13, vcc, 0, v33, vcc
	flat_load_dword v12, v[12:13]
	s_mov_b32 s26, 0x200000
	s_waitcnt vmcnt(0) lgkmcnt(0)
	v_not_b32_e32 v13, v12
	v_and_b32_e32 v14, 0x7fe00000, v13
	v_cmp_gt_i32_e32 vcc, 0, v12
	v_cndmask_b32_e32 v14, v14, v12, vcc
	v_xor_b32_e32 v14, v14, v31
	v_cmp_gt_u32_e32 vcc, s26, v14
	s_and_b64 exec, exec, vcc
	s_cbranch_execz .LBB7_502
; %bb.494:
	v_lshrrev_b32_e32 v14, 10, v12
	v_ashrrev_i32_e32 v13, 31, v13
	v_xor_b32_e32 v13, v14, v13
	v_and_b32_e32 v13, 0x7ff, v13
	v_cmp_lt_u32_e32 vcc, v13, v30
	s_and_saveexec_b64 s[26:27], vcc
	s_cbranch_execz .LBB7_498
; %bb.495:
	s_mov_b64 s[30:31], exec
	v_mbcnt_lo_u32_b32 v14, s30, 0
	v_mbcnt_hi_u32_b32 v14, s31, v14
	v_cmp_eq_u32_e32 vcc, 0, v14
                                        ; implicit-def: $vgpr15
	s_and_saveexec_b64 s[28:29], vcc
	s_cbranch_execz .LBB7_497
; %bb.496:
	s_bcnt1_i32_b64 vcc_lo, s[30:31]
	v_mov_b32_e32 v15, 0
	v_mov_b32_e32 v17, vcc_lo
	ds_add_rtn_u32 v15, v15, v17 offset:49448
.LBB7_497:
	s_or_b64 exec, exec, s[28:29]
	s_ashr_i32 s51, s50, 31
	s_lshl_b64 s[28:29], s[50:51], 2
	s_getpc_b64 vcc
	s_add_u32 vcc_lo, vcc_lo, llvm.amdgcn.dynlds.offset.table@rel32@lo+4
	s_addc_u32 vcc_hi, vcc_hi, llvm.amdgcn.dynlds.offset.table@rel32@hi+12
	s_add_u32 s28, s28, vcc_lo
	s_addc_u32 s29, s29, vcc_hi
	s_load_dword s28, s[28:29], 0x0
	s_waitcnt lgkmcnt(0)
	v_readfirstlane_b32 s29, v15
	v_add_u32_e32 v14, s29, v14
	v_add_u32_e32 v15, v20, v2
	v_lshl_add_u32 v14, v14, 2, s28
	ds_write_b32 v14, v15
	v_lshl_add_u32 v14, v9, 2, v14
	ds_write_b32 v14, v12
.LBB7_498:
	s_or_b64 exec, exec, s[26:27]
	v_mov_b32_e32 v14, 0
	ds_read_b32 v14, v14 offset:49444
	v_cmp_eq_u32_e32 vcc, v13, v30
	s_waitcnt lgkmcnt(0)
	v_readfirstlane_b32 s26, v14
	s_cmpk_lt_i32 s26, 0x801
	s_cselect_b64 s[26:27], -1, 0
	s_and_b64 s[26:27], vcc, s[26:27]
	s_and_b64 exec, exec, s[26:27]
	s_cbranch_execz .LBB7_502
; %bb.499:
	s_mov_b64 s[28:29], exec
	v_mbcnt_lo_u32_b32 v13, s28, 0
	v_mbcnt_hi_u32_b32 v13, s29, v13
	v_cmp_eq_u32_e32 vcc, 0, v13
                                        ; implicit-def: $vgpr14
	s_and_saveexec_b64 s[26:27], vcc
	s_cbranch_execz .LBB7_501
; %bb.500:
	s_bcnt1_i32_b64 s28, s[28:29]
	v_mov_b32_e32 v14, 0
	v_mov_b32_e32 v15, s28
	ds_add_rtn_u32 v14, v14, v15 offset:49440
.LBB7_501:
	s_or_b64 exec, exec, s[26:27]
	s_waitcnt lgkmcnt(0)
	v_readfirstlane_b32 s26, v14
	v_add_lshl_u32 v13, s26, v13, 2
	v_add_u32_e32 v14, v20, v2
	v_add_u32_e32 v13, 32, v13
	ds_write2st64_b32 v13, v14, v12 offset0:129 offset1:161
.LBB7_502:
	s_or_b64 exec, exec, s[8:9]
	v_lshlrev_b32_e32 v12, 2, v18
	v_add3_u32 v12, v16, v20, v12
	v_cmp_lt_i32_e32 vcc, v12, v24
	s_and_saveexec_b64 s[8:9], vcc
	s_cbranch_execz .LBB7_512
; %bb.503:
	v_ashrrev_i32_e32 v13, 31, v12
	v_lshlrev_b64 v[14:15], 2, v[12:13]
	v_add_co_u32_e32 v14, vcc, v32, v14
	v_addc_co_u32_e32 v15, vcc, v33, v15, vcc
	flat_load_dword v13, v[14:15]
	s_mov_b32 s26, 0x200000
	s_waitcnt vmcnt(0) lgkmcnt(0)
	v_not_b32_e32 v14, v13
	v_and_b32_e32 v15, 0x7fe00000, v14
	v_cmp_gt_i32_e32 vcc, 0, v13
	v_cndmask_b32_e32 v15, v15, v13, vcc
	v_xor_b32_e32 v15, v15, v31
	v_cmp_gt_u32_e32 vcc, s26, v15
	s_and_b64 exec, exec, vcc
	s_cbranch_execz .LBB7_512
; %bb.504:
	v_lshrrev_b32_e32 v15, 10, v13
	v_ashrrev_i32_e32 v14, 31, v14
	v_xor_b32_e32 v14, v15, v14
	v_and_b32_e32 v14, 0x7ff, v14
	v_cmp_lt_u32_e32 vcc, v14, v30
	s_and_saveexec_b64 s[26:27], vcc
	s_cbranch_execz .LBB7_508
; %bb.505:
	s_mov_b64 s[30:31], exec
	v_mbcnt_lo_u32_b32 v15, s30, 0
	v_mbcnt_hi_u32_b32 v15, s31, v15
	v_cmp_eq_u32_e32 vcc, 0, v15
                                        ; implicit-def: $vgpr16
	s_and_saveexec_b64 s[28:29], vcc
	s_cbranch_execz .LBB7_507
; %bb.506:
	s_bcnt1_i32_b64 vcc_lo, s[30:31]
	v_mov_b32_e32 v16, 0
	v_mov_b32_e32 v17, vcc_lo
	ds_add_rtn_u32 v16, v16, v17 offset:49448
.LBB7_507:
	s_or_b64 exec, exec, s[28:29]
	s_ashr_i32 s51, s50, 31
	s_lshl_b64 s[28:29], s[50:51], 2
	s_getpc_b64 vcc
	s_add_u32 vcc_lo, vcc_lo, llvm.amdgcn.dynlds.offset.table@rel32@lo+4
	s_addc_u32 vcc_hi, vcc_hi, llvm.amdgcn.dynlds.offset.table@rel32@hi+12
	s_add_u32 s28, s28, vcc_lo
	s_addc_u32 s29, s29, vcc_hi
	s_load_dword s28, s[28:29], 0x0
	s_waitcnt lgkmcnt(0)
	v_readfirstlane_b32 s29, v16
	v_add_u32_e32 v15, s29, v15
	v_add_u32_e32 v16, v12, v2
	v_lshl_add_u32 v15, v15, 2, s28
	ds_write_b32 v15, v16
	v_lshl_add_u32 v15, v9, 2, v15
	ds_write_b32 v15, v13
.LBB7_508:
	s_or_b64 exec, exec, s[26:27]
	v_mov_b32_e32 v15, 0
	ds_read_b32 v15, v15 offset:49444
	v_cmp_eq_u32_e32 vcc, v14, v30
	s_waitcnt lgkmcnt(0)
	v_readfirstlane_b32 s26, v15
	s_cmpk_lt_i32 s26, 0x801
	s_cselect_b64 s[26:27], -1, 0
	s_and_b64 s[26:27], vcc, s[26:27]
	s_and_b64 exec, exec, s[26:27]
	s_cbranch_execz .LBB7_512
; %bb.509:
	s_mov_b64 s[28:29], exec
	v_mbcnt_lo_u32_b32 v14, s28, 0
	v_mbcnt_hi_u32_b32 v14, s29, v14
	v_cmp_eq_u32_e32 vcc, 0, v14
                                        ; implicit-def: $vgpr15
	s_and_saveexec_b64 s[26:27], vcc
	s_cbranch_execz .LBB7_511
; %bb.510:
	s_bcnt1_i32_b64 s28, s[28:29]
	v_mov_b32_e32 v15, 0
	v_mov_b32_e32 v16, s28
	ds_add_rtn_u32 v15, v15, v16 offset:49440
.LBB7_511:
	s_or_b64 exec, exec, s[26:27]
	s_waitcnt lgkmcnt(0)
	v_readfirstlane_b32 s26, v15
	v_add_lshl_u32 v14, s26, v14, 2
	v_add_u32_e32 v12, v12, v2
	v_add_u32_e32 v14, 32, v14
	ds_write2st64_b32 v14, v12, v13 offset0:129 offset1:161
.LBB7_512:
	s_or_b64 exec, exec, s[8:9]
.LBB7_513:
	s_or_b64 exec, exec, s[24:25]
	v_mov_b32_e32 v12, 0
	s_waitcnt lgkmcnt(0)
	s_barrier
	ds_read_b32 v12, v12 offset:49444
	s_movk_i32 s8, 0x800
	s_waitcnt lgkmcnt(0)
	v_cmp_lt_i32_e64 s[8:9], s8, v12
	s_andn2_b64 vcc, exec, s[8:9]
	s_mov_b64 s[8:9], -1
	s_cbranch_vccz .LBB7_549
.LBB7_514:
	v_mov_b32_e32 v12, 0
	ds_read_b32 v22, v12 offset:49440
	s_mov_b32 s24, 0xff7fffff
	s_mov_b32 s25, s24
	s_mov_b32 s26, s24
	s_mov_b32 s27, s24
	v_pk_mov_b32 v[16:17], s[24:25], s[24:25] op_sel:[0,1]
	s_waitcnt lgkmcnt(0)
	v_cmp_lt_i32_e32 vcc, v20, v22
	v_pk_mov_b32 v[18:19], s[26:27], s[26:27] op_sel:[0,1]
                                        ; implicit-def: $vgpr12_vgpr13_vgpr14_vgpr15
	s_and_saveexec_b64 s[8:9], vcc
	s_cbranch_execz .LBB7_516
; %bb.515:
	ds_read2st64_b32 v[12:13], v29 offset1:32
	v_mov_b32_e32 v17, 0xff7fffff
	v_mov_b32_e32 v18, v17
	v_mov_b32_e32 v19, v17
	s_waitcnt lgkmcnt(0)
	v_mov_b32_e32 v16, v13
.LBB7_516:
	s_or_b64 exec, exec, s[8:9]
	v_add_u32_e32 v23, 0x200, v20
	v_cmp_lt_i32_e32 vcc, v23, v22
	s_and_saveexec_b64 s[8:9], vcc
	s_cbranch_execz .LBB7_518
; %bb.517:
	ds_read_b32 v17, v21 offset:43296
	ds_read_b32 v13, v29 offset:2048
.LBB7_518:
	s_or_b64 exec, exec, s[8:9]
	v_or_b32_e32 v23, 0x400, v20
	v_cmp_lt_i32_e32 vcc, v23, v22
	s_and_saveexec_b64 s[8:9], vcc
	s_cbranch_execz .LBB7_520
; %bb.519:
	ds_read_b32 v18, v21 offset:45344
	ds_read_b32 v14, v29 offset:4096
.LBB7_520:
	s_or_b64 exec, exec, s[8:9]
	v_add_u32_e32 v23, 0x600, v20
	v_cmp_lt_i32_e32 vcc, v23, v22
	s_and_saveexec_b64 s[8:9], vcc
	s_cbranch_execz .LBB7_522
; %bb.521:
	ds_read_b32 v19, v21 offset:47392
	ds_read_b32 v15, v29 offset:6144
.LBB7_522:
	s_or_b64 exec, exec, s[8:9]
	v_bfrev_b32_e32 v32, -2
	v_cmp_gt_i32_e32 vcc, 0, v16
	v_cndmask_b32_e64 v22, v32, 0, vcc
	s_waitcnt lgkmcnt(1)
	v_cmp_gt_i32_e32 vcc, 0, v17
	v_xor_b32_e32 v22, v22, v16
	v_cndmask_b32_e64 v16, v32, 0, vcc
	v_cmp_gt_i32_e32 vcc, 0, v18
	v_xor_b32_e32 v23, v16, v17
	v_cndmask_b32_e64 v16, v32, 0, vcc
	v_xor_b32_e32 v33, v16, v18
	v_mbcnt_lo_u32_b32 v16, -1, 0
	v_mbcnt_hi_u32_b32 v37, -1, v16
	v_lshrrev_b32_e32 v34, 2, v37
	v_and_b32_e32 v35, 64, v37
	v_or_b32_e32 v16, v34, v35
	v_lshlrev_b32_e32 v36, 2, v16
	ds_bpermute_b32 v16, v36, v22
	ds_bpermute_b32 v17, v36, v23
	v_cmp_gt_i32_e32 vcc, 0, v19
	v_cndmask_b32_e64 v18, v32, 0, vcc
	v_xor_b32_e32 v19, v18, v19
	v_and_b32_e32 v18, 3, v37
	v_cmp_eq_u32_e32 vcc, 1, v18
	s_waitcnt lgkmcnt(0)
	v_cndmask_b32_e32 v16, v16, v17, vcc
	ds_bpermute_b32 v17, v36, v33
	ds_bpermute_b32 v38, v36, v19
	ds_bpermute_b32 v39, v36, v22 offset:64
	ds_bpermute_b32 v48, v36, v23 offset:64
	v_cmp_eq_u32_e64 s[8:9], 2, v18
	s_waitcnt lgkmcnt(3)
	v_cndmask_b32_e64 v16, v16, v17, s[8:9]
	v_cmp_eq_u32_e64 s[24:25], 3, v18
	ds_bpermute_b32 v18, v36, v33 offset:64
	s_waitcnt lgkmcnt(3)
	v_cndmask_b32_e64 v16, v16, v38, s[24:25]
	s_waitcnt lgkmcnt(1)
	v_cndmask_b32_e32 v17, v39, v48, vcc
	ds_bpermute_b32 v38, v36, v19 offset:64
	ds_bpermute_b32 v39, v36, v22 offset:128
	;; [unrolled: 1-line block ×3, first 2 shown]
	v_add_u32_e32 v34, 48, v34
	v_and_or_b32 v34, v34, 63, v35
	v_lshlrev_b32_e32 v34, 2, v34
	ds_bpermute_b32 v22, v34, v22
	ds_bpermute_b32 v23, v34, v23
	ds_bpermute_b32 v49, v36, v33 offset:128
	s_waitcnt lgkmcnt(6)
	v_cndmask_b32_e64 v17, v17, v18, s[8:9]
	ds_bpermute_b32 v33, v34, v33
	ds_bpermute_b32 v50, v36, v19 offset:128
	s_waitcnt lgkmcnt(7)
	v_cndmask_b32_e64 v17, v17, v38, s[24:25]
	s_waitcnt lgkmcnt(5)
	v_cndmask_b32_e32 v18, v39, v48, vcc
	ds_bpermute_b32 v19, v34, v19
	ds_bpermute_b32 v38, v36, v12
	;; [unrolled: 1-line block ×3, first 2 shown]
	s_waitcnt lgkmcnt(6)
	v_cndmask_b32_e32 v22, v22, v23, vcc
	ds_bpermute_b32 v48, v36, v14
	s_waitcnt lgkmcnt(5)
	v_cndmask_b32_e64 v22, v22, v33, s[8:9]
	s_waitcnt lgkmcnt(3)
	v_cndmask_b32_e64 v19, v22, v19, s[24:25]
	s_waitcnt lgkmcnt(1)
	v_cndmask_b32_e32 v22, v38, v39, vcc
	ds_bpermute_b32 v23, v36, v15
	ds_bpermute_b32 v33, v36, v12 offset:64
	ds_bpermute_b32 v38, v36, v13 offset:64
	;; [unrolled: 1-line block ×3, first 2 shown]
	v_cndmask_b32_e64 v18, v18, v49, s[8:9]
	s_waitcnt lgkmcnt(4)
	v_cndmask_b32_e64 v22, v22, v48, s[8:9]
	v_cndmask_b32_e64 v18, v18, v50, s[24:25]
	ds_bpermute_b32 v49, v36, v12 offset:128
	ds_bpermute_b32 v50, v36, v13 offset:128
	s_waitcnt lgkmcnt(5)
	v_cndmask_b32_e64 v22, v22, v23, s[24:25]
	s_waitcnt lgkmcnt(3)
	v_cndmask_b32_e32 v23, v33, v38, vcc
	ds_bpermute_b32 v12, v34, v12
	ds_bpermute_b32 v13, v34, v13
	s_waitcnt lgkmcnt(4)
	v_cndmask_b32_e64 v23, v23, v39, s[8:9]
	ds_bpermute_b32 v39, v34, v14
	ds_bpermute_b32 v48, v36, v15 offset:64
	ds_bpermute_b32 v38, v36, v14 offset:128
	;; [unrolled: 1-line block ×3, first 2 shown]
	ds_bpermute_b32 v15, v34, v15
	s_waitcnt lgkmcnt(5)
	v_cndmask_b32_e32 v12, v12, v13, vcc
	s_waitcnt lgkmcnt(4)
	v_cndmask_b32_e64 v12, v12, v39, s[8:9]
	v_cndmask_b32_e32 v33, v49, v50, vcc
	s_waitcnt lgkmcnt(2)
	v_cndmask_b32_e64 v14, v33, v38, s[8:9]
	s_waitcnt lgkmcnt(0)
	v_cndmask_b32_e64 v15, v12, v15, s[24:25]
	v_lshlrev_b32_e32 v12, 4, v20
	v_add_u32_e32 v33, 0x8120, v12
	v_add_u32_e32 v34, 0x8140, v12
	v_and_b32_e32 v12, 15, v37
	v_cndmask_b32_e64 v23, v23, v48, s[24:25]
	v_cndmask_b32_e64 v14, v14, v36, s[24:25]
	v_cmp_eq_u32_e64 s[8:9], 0, v12
	v_cmp_lt_u32_e64 s[24:25], 1, v12
	v_cmp_lt_u32_e64 s[26:27], 3, v12
	;; [unrolled: 1-line block ×3, first 2 shown]
	v_and_b32_e32 v12, 16, v37
	v_cmp_eq_u32_e64 s[30:31], 0, v12
	v_and_b32_e32 v12, 0x3c0, v20
	v_min_u32_e32 v12, 0x1c0, v12
	v_or_b32_e32 v12, 63, v12
	v_cmp_eq_u32_e64 s[36:37], v12, v20
	v_add_u32_e32 v12, -1, v37
	v_cmp_lt_i32_e32 vcc, v12, v35
	v_cndmask_b32_e32 v12, v12, v37, vcc
	v_lshlrev_b32_e32 v35, 2, v12
	v_lshrrev_b32_e32 v12, 4, v20
	v_and_b32_e32 v12, 60, v12
	v_and_b32_e32 v13, 7, v37
	s_movk_i32 vcc_lo, 0xf00
	v_add_u32_e32 v36, 0x8120, v12
	v_cmp_eq_u32_e64 s[42:43], 0, v13
	v_cmp_lt_u32_e64 s[44:45], 1, v13
	v_cmp_lt_u32_e64 s[46:47], 3, v13
	v_add_u32_e32 v38, 0x811c, v12
	v_and_or_b32 v12, v21, vcc_lo, v37
	v_mov_b32_e32 v13, 0x8120
	s_mov_b32 s51, 0
	v_cmp_lt_u32_e64 s[34:35], 31, v37
	v_cmp_gt_u32_e64 s[38:39], 8, v20
	v_cmp_eq_u32_e64 s[40:41], 0, v37
	v_lshl_add_u32 v49, v12, 2, v13
	v_mov_b32_e32 v12, 0
	s_brev_b32 s56, 1
	v_mov_b32_e32 v51, 0x8140
	s_barrier
	s_barrier
	s_branch .LBB7_524
.LBB7_523:                              ;   in Loop: Header=BB7_524 Depth=1
	v_lshlrev_b32_e32 v14, 2, v69
	v_lshlrev_b32_e32 v15, 2, v66
	;; [unrolled: 1-line block ×4, first 2 shown]
	s_barrier
	ds_write_b32 v14, v55 offset:33056
	ds_write_b32 v15, v54 offset:33056
	;; [unrolled: 1-line block ×4, first 2 shown]
	s_waitcnt lgkmcnt(0)
	s_barrier
	ds_read2st64_b32 v[16:17], v49 offset1:1
	ds_read2st64_b32 v[18:19], v49 offset0:2 offset1:3
	s_waitcnt lgkmcnt(0)
	s_barrier
	ds_write_b32 v14, v50 offset:33056
	ds_write_b32 v15, v48 offset:33056
	;; [unrolled: 1-line block ×4, first 2 shown]
	s_waitcnt lgkmcnt(0)
	s_barrier
	ds_read2st64_b32 v[22:23], v49 offset1:1
	ds_read2st64_b32 v[14:15], v49 offset0:2 offset1:3
	s_add_i32 s51, s51, 8
	s_waitcnt lgkmcnt(0)
	s_barrier
	s_cbranch_execz .LBB7_540
.LBB7_524:                              ; =>This Inner Loop Header: Depth=1
	v_mov_b32_e32 v55, v16
	v_cmp_ne_u32_e32 vcc, s56, v55
	v_cndmask_b32_e32 v13, v32, v55, vcc
	v_mov_b32_e32 v37, v15
	v_bfe_u32 v15, v13, s51, 8
	v_mov_b32_e32 v39, v14
	v_lshrrev_b32_e32 v14, s51, v13
	v_lshl_add_u32 v15, v15, 3, v28
	v_bfe_u32 v13, v13, s51, 1
	v_mov_b32_e32 v53, v18
	v_lshl_add_u32 v18, v15, 2, v51
	v_add_co_u32_e32 v15, vcc, -1, v13
	v_addc_co_u32_e64 v16, vcc, 0, -1, vcc
	v_cmp_ne_u32_e32 vcc, 0, v13
	v_xor_b32_e32 v13, vcc_hi, v16
	v_and_b32_e32 v16, exec_hi, v13
	v_lshlrev_b32_e32 v13, 30, v14
	v_xor_b32_e32 v15, vcc_lo, v15
	v_cmp_gt_i64_e32 vcc, 0, v[12:13]
	v_not_b32_e32 v13, v13
	v_ashrrev_i32_e32 v13, 31, v13
	v_mov_b32_e32 v54, v17
	v_and_b32_e32 v15, exec_lo, v15
	v_xor_b32_e32 v17, vcc_hi, v13
	v_xor_b32_e32 v13, vcc_lo, v13
	v_and_b32_e32 v15, v15, v13
	v_lshlrev_b32_e32 v13, 29, v14
	v_cmp_gt_i64_e32 vcc, 0, v[12:13]
	v_not_b32_e32 v13, v13
	v_ashrrev_i32_e32 v13, 31, v13
	v_and_b32_e32 v16, v16, v17
	v_xor_b32_e32 v17, vcc_hi, v13
	v_xor_b32_e32 v13, vcc_lo, v13
	v_and_b32_e32 v15, v15, v13
	v_lshlrev_b32_e32 v13, 28, v14
	v_cmp_gt_i64_e32 vcc, 0, v[12:13]
	v_not_b32_e32 v13, v13
	v_ashrrev_i32_e32 v13, 31, v13
	v_and_b32_e32 v16, v16, v17
	;; [unrolled: 8-line block ×5, first 2 shown]
	v_xor_b32_e32 v17, vcc_hi, v13
	v_xor_b32_e32 v13, vcc_lo, v13
	v_and_b32_e32 v16, v16, v17
	v_and_b32_e32 v17, v15, v13
	v_lshlrev_b32_e32 v13, 24, v14
	v_cmp_gt_i64_e32 vcc, 0, v[12:13]
	v_not_b32_e32 v13, v13
	v_ashrrev_i32_e32 v13, 31, v13
	v_xor_b32_e32 v14, vcc_hi, v13
	v_xor_b32_e32 v13, vcc_lo, v13
	v_and_b32_e32 v15, v16, v14
	v_and_b32_e32 v14, v17, v13
	v_mbcnt_lo_u32_b32 v13, v14, 0
	v_mov_b32_e32 v52, v19
	v_mbcnt_hi_u32_b32 v19, v15, v13
	v_cmp_eq_u32_e32 vcc, 0, v19
	v_cmp_ne_u64_e64 s[48:49], 0, v[14:15]
	v_mov_b32_e32 v48, v23
	v_mov_b32_e32 v50, v22
	s_and_b64 s[48:49], s[48:49], vcc
	ds_write2_b32 v33, v12, v12 offset0:8 offset1:9
	ds_write2_b32 v34, v12, v12 offset0:2 offset1:3
	s_waitcnt lgkmcnt(0)
	s_barrier
	s_waitcnt lgkmcnt(0)
	; wave barrier
	s_and_saveexec_b64 vcc, s[48:49]
	s_cbranch_execz .LBB7_526
; %bb.525:                              ;   in Loop: Header=BB7_524 Depth=1
	v_bcnt_u32_b32 v13, v14, 0
	v_bcnt_u32_b32 v13, v15, v13
	ds_write_b32 v18, v13
.LBB7_526:                              ;   in Loop: Header=BB7_524 Depth=1
	s_or_b64 exec, exec, vcc
	v_cmp_ne_u32_e32 vcc, s56, v54
	v_cndmask_b32_e32 v13, v32, v54, vcc
	v_bfe_u32 v15, v13, s51, 8
	v_lshlrev_b32_e32 v15, 3, v15
	v_lshrrev_b32_e32 v14, s51, v13
	v_add_lshl_u32 v15, v15, v28, 2
	v_bfe_u32 v13, v13, s51, 1
	; wave barrier
	v_add_u32_e32 v23, 0x8140, v15
	ds_read_b32 v22, v15 offset:33088
	v_add_co_u32_e32 v15, vcc, -1, v13
	v_addc_co_u32_e64 v16, vcc, 0, -1, vcc
	v_cmp_ne_u32_e32 vcc, 0, v13
	v_xor_b32_e32 v13, vcc_hi, v16
	v_and_b32_e32 v16, exec_hi, v13
	v_lshlrev_b32_e32 v13, 30, v14
	v_xor_b32_e32 v15, vcc_lo, v15
	v_cmp_gt_i64_e32 vcc, 0, v[12:13]
	v_not_b32_e32 v13, v13
	v_ashrrev_i32_e32 v13, 31, v13
	v_and_b32_e32 v15, exec_lo, v15
	v_xor_b32_e32 v17, vcc_hi, v13
	v_xor_b32_e32 v13, vcc_lo, v13
	v_and_b32_e32 v15, v15, v13
	v_lshlrev_b32_e32 v13, 29, v14
	v_cmp_gt_i64_e32 vcc, 0, v[12:13]
	v_not_b32_e32 v13, v13
	v_ashrrev_i32_e32 v13, 31, v13
	v_and_b32_e32 v16, v16, v17
	v_xor_b32_e32 v17, vcc_hi, v13
	v_xor_b32_e32 v13, vcc_lo, v13
	v_and_b32_e32 v15, v15, v13
	v_lshlrev_b32_e32 v13, 28, v14
	v_cmp_gt_i64_e32 vcc, 0, v[12:13]
	v_not_b32_e32 v13, v13
	v_ashrrev_i32_e32 v13, 31, v13
	v_and_b32_e32 v16, v16, v17
	;; [unrolled: 8-line block ×5, first 2 shown]
	v_xor_b32_e32 v17, vcc_hi, v13
	v_xor_b32_e32 v13, vcc_lo, v13
	v_and_b32_e32 v16, v16, v17
	v_and_b32_e32 v17, v15, v13
	v_lshlrev_b32_e32 v13, 24, v14
	v_cmp_gt_i64_e32 vcc, 0, v[12:13]
	v_not_b32_e32 v13, v13
	v_ashrrev_i32_e32 v13, 31, v13
	v_xor_b32_e32 v14, vcc_hi, v13
	v_xor_b32_e32 v13, vcc_lo, v13
	v_and_b32_e32 v15, v16, v14
	v_and_b32_e32 v14, v17, v13
	v_mbcnt_lo_u32_b32 v13, v14, 0
	v_mbcnt_hi_u32_b32 v64, v15, v13
	v_cmp_eq_u32_e32 vcc, 0, v64
	v_cmp_ne_u64_e64 s[48:49], 0, v[14:15]
	s_and_b64 s[48:49], s[48:49], vcc
	; wave barrier
	s_and_saveexec_b64 vcc, s[48:49]
	s_cbranch_execz .LBB7_528
; %bb.527:                              ;   in Loop: Header=BB7_524 Depth=1
	v_bcnt_u32_b32 v13, v14, 0
	v_bcnt_u32_b32 v13, v15, v13
	s_waitcnt lgkmcnt(0)
	v_add_u32_e32 v13, v22, v13
	ds_write_b32 v23, v13
.LBB7_528:                              ;   in Loop: Header=BB7_524 Depth=1
	s_or_b64 exec, exec, vcc
	v_cmp_ne_u32_e32 vcc, s56, v53
	v_cndmask_b32_e32 v13, v32, v53, vcc
	v_bfe_u32 v15, v13, s51, 8
	v_lshlrev_b32_e32 v15, 3, v15
	v_lshrrev_b32_e32 v14, s51, v13
	v_add_lshl_u32 v15, v15, v28, 2
	v_bfe_u32 v13, v13, s51, 1
	; wave barrier
	v_add_u32_e32 v66, 0x8140, v15
	ds_read_b32 v65, v15 offset:33088
	v_add_co_u32_e32 v15, vcc, -1, v13
	v_addc_co_u32_e64 v16, vcc, 0, -1, vcc
	v_cmp_ne_u32_e32 vcc, 0, v13
	v_xor_b32_e32 v13, vcc_hi, v16
	v_and_b32_e32 v16, exec_hi, v13
	v_lshlrev_b32_e32 v13, 30, v14
	v_xor_b32_e32 v15, vcc_lo, v15
	v_cmp_gt_i64_e32 vcc, 0, v[12:13]
	v_not_b32_e32 v13, v13
	v_ashrrev_i32_e32 v13, 31, v13
	v_and_b32_e32 v15, exec_lo, v15
	v_xor_b32_e32 v17, vcc_hi, v13
	v_xor_b32_e32 v13, vcc_lo, v13
	v_and_b32_e32 v15, v15, v13
	v_lshlrev_b32_e32 v13, 29, v14
	v_cmp_gt_i64_e32 vcc, 0, v[12:13]
	v_not_b32_e32 v13, v13
	v_ashrrev_i32_e32 v13, 31, v13
	v_and_b32_e32 v16, v16, v17
	v_xor_b32_e32 v17, vcc_hi, v13
	v_xor_b32_e32 v13, vcc_lo, v13
	v_and_b32_e32 v15, v15, v13
	v_lshlrev_b32_e32 v13, 28, v14
	v_cmp_gt_i64_e32 vcc, 0, v[12:13]
	v_not_b32_e32 v13, v13
	v_ashrrev_i32_e32 v13, 31, v13
	v_and_b32_e32 v16, v16, v17
	v_xor_b32_e32 v17, vcc_hi, v13
	v_xor_b32_e32 v13, vcc_lo, v13
	v_and_b32_e32 v15, v15, v13
	v_lshlrev_b32_e32 v13, 27, v14
	v_cmp_gt_i64_e32 vcc, 0, v[12:13]
	v_not_b32_e32 v13, v13
	v_ashrrev_i32_e32 v13, 31, v13
	v_and_b32_e32 v16, v16, v17
	v_xor_b32_e32 v17, vcc_hi, v13
	v_xor_b32_e32 v13, vcc_lo, v13
	v_and_b32_e32 v15, v15, v13
	v_lshlrev_b32_e32 v13, 26, v14
	v_cmp_gt_i64_e32 vcc, 0, v[12:13]
	v_not_b32_e32 v13, v13
	v_ashrrev_i32_e32 v13, 31, v13
	v_and_b32_e32 v16, v16, v17
	v_xor_b32_e32 v17, vcc_hi, v13
	v_xor_b32_e32 v13, vcc_lo, v13
	v_and_b32_e32 v15, v15, v13
	v_lshlrev_b32_e32 v13, 25, v14
	v_cmp_gt_i64_e32 vcc, 0, v[12:13]
	v_not_b32_e32 v13, v13
	v_ashrrev_i32_e32 v13, 31, v13
	v_and_b32_e32 v16, v16, v17
	v_xor_b32_e32 v17, vcc_hi, v13
	v_xor_b32_e32 v13, vcc_lo, v13
	v_and_b32_e32 v16, v16, v17
	v_and_b32_e32 v17, v15, v13
	v_lshlrev_b32_e32 v13, 24, v14
	v_cmp_gt_i64_e32 vcc, 0, v[12:13]
	v_not_b32_e32 v13, v13
	v_ashrrev_i32_e32 v13, 31, v13
	v_xor_b32_e32 v14, vcc_hi, v13
	v_xor_b32_e32 v13, vcc_lo, v13
	v_and_b32_e32 v15, v16, v14
	v_and_b32_e32 v14, v17, v13
	v_mbcnt_lo_u32_b32 v13, v14, 0
	v_mbcnt_hi_u32_b32 v67, v15, v13
	v_cmp_eq_u32_e32 vcc, 0, v67
	v_cmp_ne_u64_e64 s[48:49], 0, v[14:15]
	s_and_b64 s[48:49], s[48:49], vcc
	; wave barrier
	s_and_saveexec_b64 vcc, s[48:49]
	s_cbranch_execz .LBB7_530
; %bb.529:                              ;   in Loop: Header=BB7_524 Depth=1
	v_bcnt_u32_b32 v13, v14, 0
	v_bcnt_u32_b32 v13, v15, v13
	s_waitcnt lgkmcnt(0)
	v_add_u32_e32 v13, v65, v13
	ds_write_b32 v66, v13
.LBB7_530:                              ;   in Loop: Header=BB7_524 Depth=1
	s_or_b64 exec, exec, vcc
	v_cmp_ne_u32_e32 vcc, s56, v52
	v_cndmask_b32_e32 v13, v32, v52, vcc
	v_bfe_u32 v15, v13, s51, 8
	v_lshlrev_b32_e32 v15, 3, v15
	v_lshrrev_b32_e32 v14, s51, v13
	v_add_lshl_u32 v15, v15, v28, 2
	v_bfe_u32 v13, v13, s51, 1
	; wave barrier
	v_add_u32_e32 v69, 0x8140, v15
	ds_read_b32 v68, v15 offset:33088
	v_add_co_u32_e32 v15, vcc, -1, v13
	v_addc_co_u32_e64 v16, vcc, 0, -1, vcc
	v_cmp_ne_u32_e32 vcc, 0, v13
	v_xor_b32_e32 v13, vcc_hi, v16
	v_and_b32_e32 v16, exec_hi, v13
	v_lshlrev_b32_e32 v13, 30, v14
	v_xor_b32_e32 v15, vcc_lo, v15
	v_cmp_gt_i64_e32 vcc, 0, v[12:13]
	v_not_b32_e32 v13, v13
	v_ashrrev_i32_e32 v13, 31, v13
	v_and_b32_e32 v15, exec_lo, v15
	v_xor_b32_e32 v17, vcc_hi, v13
	v_xor_b32_e32 v13, vcc_lo, v13
	v_and_b32_e32 v15, v15, v13
	v_lshlrev_b32_e32 v13, 29, v14
	v_cmp_gt_i64_e32 vcc, 0, v[12:13]
	v_not_b32_e32 v13, v13
	v_ashrrev_i32_e32 v13, 31, v13
	v_and_b32_e32 v16, v16, v17
	v_xor_b32_e32 v17, vcc_hi, v13
	v_xor_b32_e32 v13, vcc_lo, v13
	v_and_b32_e32 v15, v15, v13
	v_lshlrev_b32_e32 v13, 28, v14
	v_cmp_gt_i64_e32 vcc, 0, v[12:13]
	v_not_b32_e32 v13, v13
	v_ashrrev_i32_e32 v13, 31, v13
	v_and_b32_e32 v16, v16, v17
	;; [unrolled: 8-line block ×5, first 2 shown]
	v_xor_b32_e32 v17, vcc_hi, v13
	v_xor_b32_e32 v13, vcc_lo, v13
	v_and_b32_e32 v16, v16, v17
	v_and_b32_e32 v17, v15, v13
	v_lshlrev_b32_e32 v13, 24, v14
	v_cmp_gt_i64_e32 vcc, 0, v[12:13]
	v_not_b32_e32 v13, v13
	v_ashrrev_i32_e32 v13, 31, v13
	v_xor_b32_e32 v14, vcc_hi, v13
	v_xor_b32_e32 v13, vcc_lo, v13
	v_and_b32_e32 v15, v16, v14
	v_and_b32_e32 v14, v17, v13
	v_mbcnt_lo_u32_b32 v13, v14, 0
	v_mbcnt_hi_u32_b32 v13, v15, v13
	v_cmp_eq_u32_e32 vcc, 0, v13
	v_cmp_ne_u64_e64 s[48:49], 0, v[14:15]
	s_and_b64 s[48:49], s[48:49], vcc
	; wave barrier
	s_and_saveexec_b64 vcc, s[48:49]
	s_cbranch_execz .LBB7_532
; %bb.531:                              ;   in Loop: Header=BB7_524 Depth=1
	v_bcnt_u32_b32 v14, v14, 0
	v_bcnt_u32_b32 v14, v15, v14
	s_waitcnt lgkmcnt(0)
	v_add_u32_e32 v14, v68, v14
	ds_write_b32 v69, v14
.LBB7_532:                              ;   in Loop: Header=BB7_524 Depth=1
	s_or_b64 exec, exec, vcc
	; wave barrier
	s_waitcnt lgkmcnt(0)
	s_barrier
	ds_read2_b32 v[16:17], v33 offset0:8 offset1:9
	ds_read2_b32 v[14:15], v34 offset0:2 offset1:3
	s_waitcnt lgkmcnt(1)
	v_add_u32_e32 v70, v17, v16
	s_waitcnt lgkmcnt(0)
	v_add3_u32 v15, v70, v14, v15
	s_nop 1
	v_mov_b32_dpp v70, v15 row_shr:1 row_mask:0xf bank_mask:0xf
	v_cndmask_b32_e64 v70, v70, 0, s[8:9]
	v_add_u32_e32 v15, v70, v15
	s_nop 1
	v_mov_b32_dpp v70, v15 row_shr:2 row_mask:0xf bank_mask:0xf
	v_cndmask_b32_e64 v70, 0, v70, s[24:25]
	v_add_u32_e32 v15, v15, v70
	;; [unrolled: 4-line block ×4, first 2 shown]
	s_nop 1
	v_mov_b32_dpp v70, v15 row_bcast:15 row_mask:0xf bank_mask:0xf
	v_cndmask_b32_e64 v70, v70, 0, s[30:31]
	v_add_u32_e32 v15, v15, v70
	s_nop 1
	v_mov_b32_dpp v70, v15 row_bcast:31 row_mask:0xf bank_mask:0xf
	v_cndmask_b32_e64 v70, 0, v70, s[34:35]
	v_add_u32_e32 v15, v15, v70
	s_and_saveexec_b64 vcc, s[36:37]
	s_cbranch_execz .LBB7_534
; %bb.533:                              ;   in Loop: Header=BB7_524 Depth=1
	ds_write_b32 v36, v15
.LBB7_534:                              ;   in Loop: Header=BB7_524 Depth=1
	s_or_b64 exec, exec, vcc
	s_waitcnt lgkmcnt(0)
	s_barrier
	s_and_saveexec_b64 vcc, s[38:39]
	s_cbranch_execz .LBB7_536
; %bb.535:                              ;   in Loop: Header=BB7_524 Depth=1
	ds_read_b32 v70, v29
	s_waitcnt lgkmcnt(0)
	s_nop 0
	v_mov_b32_dpp v71, v70 row_shr:1 row_mask:0xf bank_mask:0xf
	v_cndmask_b32_e64 v71, v71, 0, s[42:43]
	v_add_u32_e32 v70, v71, v70
	s_nop 1
	v_mov_b32_dpp v71, v70 row_shr:2 row_mask:0xf bank_mask:0xf
	v_cndmask_b32_e64 v71, 0, v71, s[44:45]
	v_add_u32_e32 v70, v70, v71
	;; [unrolled: 4-line block ×3, first 2 shown]
	ds_write_b32 v29, v70
.LBB7_536:                              ;   in Loop: Header=BB7_524 Depth=1
	s_or_b64 exec, exec, vcc
	v_mov_b32_e32 v70, 0
	s_waitcnt lgkmcnt(0)
	s_barrier
	s_and_saveexec_b64 vcc, s[20:21]
	s_cbranch_execz .LBB7_538
; %bb.537:                              ;   in Loop: Header=BB7_524 Depth=1
	ds_read_b32 v70, v38
.LBB7_538:                              ;   in Loop: Header=BB7_524 Depth=1
	s_or_b64 exec, exec, vcc
	s_waitcnt lgkmcnt(0)
	v_add_u32_e32 v15, v70, v15
	ds_bpermute_b32 v15, v35, v15
	s_cmp_gt_u32 s51, 23
	s_waitcnt lgkmcnt(0)
	v_cndmask_b32_e64 v15, v15, v70, s[40:41]
	v_cndmask_b32_e64 v15, v15, 0, s[22:23]
	v_add_u32_e32 v16, v15, v16
	v_add_u32_e32 v17, v16, v17
	;; [unrolled: 1-line block ×3, first 2 shown]
	ds_write2_b32 v33, v15, v16 offset0:8 offset1:9
	ds_write2_b32 v34, v17, v14 offset0:2 offset1:3
	s_waitcnt lgkmcnt(0)
	s_barrier
	ds_read_b32 v14, v18
	ds_read_b32 v15, v23
	;; [unrolled: 1-line block ×4, first 2 shown]
	s_waitcnt lgkmcnt(3)
	v_add_u32_e32 v69, v14, v19
	s_waitcnt lgkmcnt(2)
	v_add3_u32 v66, v64, v22, v15
	s_waitcnt lgkmcnt(1)
	v_add3_u32 v64, v67, v65, v16
	;; [unrolled: 2-line block ×3, first 2 shown]
	s_cbranch_scc0 .LBB7_523
; %bb.539:
                                        ; implicit-def: $vgpr19
                                        ; implicit-def: $vgpr17
                                        ; implicit-def: $vgpr15
                                        ; implicit-def: $vgpr23
                                        ; implicit-def: $sgpr51
.LBB7_540:
	s_ashr_i32 s51, s50, 31
	s_lshl_b64 s[8:9], s[50:51], 2
	v_lshlrev_b32_e32 v16, 2, v69
	v_lshlrev_b32_e32 v17, 2, v66
	v_lshlrev_b32_e32 v18, 2, v64
	v_lshlrev_b32_e32 v19, 2, v13
	s_getpc_b64 s[20:21]
	s_add_u32 s20, s20, llvm.amdgcn.dynlds.offset.table@rel32@lo+4
	s_addc_u32 s21, s21, llvm.amdgcn.dynlds.offset.table@rel32@hi+12
	s_barrier
	ds_write_b32 v16, v55 offset:33056
	ds_write_b32 v17, v54 offset:33056
	;; [unrolled: 1-line block ×4, first 2 shown]
	s_waitcnt lgkmcnt(0)
	s_barrier
	ds_read2st64_b32 v[14:15], v29 offset1:8
	ds_read2st64_b32 v[12:13], v29 offset0:16 offset1:24
	s_waitcnt lgkmcnt(0)
	s_barrier
	ds_write_b32 v16, v50 offset:33056
	ds_write_b32 v17, v48 offset:33056
	;; [unrolled: 1-line block ×4, first 2 shown]
	v_mov_b32_e32 v16, 0
	s_add_u32 s8, s8, s20
	s_waitcnt lgkmcnt(0)
	s_barrier
	ds_read_b32 v19, v16 offset:49448
	s_addc_u32 s9, s9, s21
	s_load_dword s20, s[8:9], 0x0
	ds_read_b32 v18, v29 offset:6144
	ds_read2st64_b32 v[16:17], v29 offset0:8 offset1:16
	s_waitcnt lgkmcnt(0)
	v_add_u32_e32 v23, v19, v20
	v_cmp_lt_i32_e32 vcc, v23, v9
	v_lshl_add_u32 v19, v9, 2, s20
	v_lshlrev_b32_e32 v22, 2, v23
	s_and_saveexec_b64 s[8:9], vcc
	s_cbranch_execz .LBB7_542
; %bb.541:
	ds_read_b32 v33, v29
	v_bfrev_b32_e32 v32, -2
	v_cmp_gt_i32_e32 vcc, 0, v14
	v_cndmask_b32_e64 v32, v32, 0, vcc
	v_xor_b32_e32 v14, v32, v14
	v_add_u32_e32 v32, s20, v22
	s_waitcnt lgkmcnt(0)
	ds_write_b32 v32, v33
	v_add_u32_e32 v32, v19, v22
	ds_write_b32 v32, v14
.LBB7_542:
	s_or_b64 exec, exec, s[8:9]
	v_add_u32_e32 v14, 0x200, v23
	v_cmp_lt_i32_e32 vcc, v14, v9
	s_and_saveexec_b64 s[8:9], vcc
	s_cbranch_execz .LBB7_544
; %bb.543:
	v_bfrev_b32_e32 v14, -2
	v_cmp_gt_i32_e32 vcc, 0, v15
	v_cndmask_b32_e64 v14, v14, 0, vcc
	v_xor_b32_e32 v14, v14, v15
	v_add_u32_e32 v15, s20, v22
	ds_write_b32 v15, v16 offset:2048
	v_add_u32_e32 v15, v19, v22
	ds_write_b32 v15, v14 offset:2048
.LBB7_544:
	s_or_b64 exec, exec, s[8:9]
	v_add_u32_e32 v14, 0x400, v23
	v_cmp_lt_i32_e32 vcc, v14, v9
	s_and_saveexec_b64 s[8:9], vcc
	s_cbranch_execz .LBB7_546
; %bb.545:
	v_bfrev_b32_e32 v14, -2
	v_cmp_gt_i32_e32 vcc, 0, v12
	v_cndmask_b32_e64 v14, v14, 0, vcc
	v_xor_b32_e32 v12, v14, v12
	v_add_u32_e32 v14, s20, v22
	ds_write_b32 v14, v17 offset:4096
	v_add_u32_e32 v14, v19, v22
	ds_write_b32 v14, v12 offset:4096
.LBB7_546:
	;; [unrolled: 15-line block ×3, first 2 shown]
	s_or_b64 exec, exec, s[8:9]
	s_mov_b64 s[8:9], 0
	s_waitcnt lgkmcnt(0)
	s_barrier
.LBB7_549:
	s_and_b64 vcc, exec, s[8:9]
	s_cbranch_vccnz .LBB7_551
; %bb.550:
	v_cmp_lt_i32_e32 vcc, v20, v9
	s_and_saveexec_b64 s[4:5], vcc
	s_cbranch_execnz .LBB7_745
	s_branch .LBB7_747
.LBB7_551:
	v_mov_b32_e32 v12, 0
	ds_write_b32 v29, v12 offset:2112
	ds_write_b32 v11, v12 offset:2048
	s_and_saveexec_b64 s[8:9], s[18:19]
	s_cbranch_execz .LBB7_553
; %bb.552:
	ds_write_b32 v11, v12 offset:4096
.LBB7_553:
	s_or_b64 exec, exec, s[8:9]
	s_and_saveexec_b64 s[8:9], s[16:17]
	s_cbranch_execz .LBB7_555
; %bb.554:
	v_mov_b32_e32 v12, 0
	ds_write_b32 v11, v12 offset:6144
.LBB7_555:
	s_or_b64 exec, exec, s[8:9]
	v_lshlrev_b32_e32 v12, 10, v30
	v_and_b32_e32 v12, 0x1ffc00, v12
	v_or_b32_e32 v22, v12, v31
	s_waitcnt lgkmcnt(0)
	s_barrier
	s_and_saveexec_b64 s[8:9], s[4:5]
	s_xor_b64 s[8:9], exec, s[8:9]
	s_cbranch_execz .LBB7_562
; %bb.556:
	v_add_u32_e32 v14, v20, v2
	v_cmp_lt_i32_e32 vcc, v14, v10
	s_and_saveexec_b64 s[16:17], vcc
	s_cbranch_execz .LBB7_561
; %bb.557:
	v_mul_lo_u32 v12, v8, v14
	v_lshlrev_b32_e32 v15, 9, v8
	s_mov_b64 s[18:19], 0
	s_movk_i32 s24, 0x400
	v_mov_b32_e32 v16, 1
	s_branch .LBB7_559
.LBB7_558:                              ;   in Loop: Header=BB7_559 Depth=1
	s_or_b64 exec, exec, s[20:21]
	v_add_u32_e32 v14, 0x200, v14
	v_cmp_ge_i32_e32 vcc, v14, v10
	s_or_b64 s[18:19], vcc, s[18:19]
	v_add_u32_e32 v12, v12, v15
	s_andn2_b64 exec, exec, s[18:19]
	s_cbranch_execz .LBB7_561
.LBB7_559:                              ; =>This Inner Loop Header: Depth=1
	v_ashrrev_i32_e32 v13, 31, v12
	v_lshlrev_b64 v[18:19], 2, v[12:13]
	v_add_co_u32_e32 v18, vcc, v0, v18
	v_addc_co_u32_e32 v19, vcc, v1, v19, vcc
	flat_load_dword v13, v[18:19]
	s_waitcnt vmcnt(0) lgkmcnt(0)
	v_not_b32_e32 v17, v13
	v_and_b32_e32 v18, 0x7ffffc00, v17
	v_cmp_gt_i32_e32 vcc, 0, v13
	v_cndmask_b32_e32 v18, v18, v13, vcc
	v_xor_b32_e32 v18, v18, v22
	v_cmp_gt_u32_e32 vcc, s24, v18
	s_and_saveexec_b64 s[20:21], vcc
	s_cbranch_execz .LBB7_558
; %bb.560:                              ;   in Loop: Header=BB7_559 Depth=1
	v_ashrrev_i32_e32 v17, 31, v17
	v_xor_b32_e32 v13, v13, v17
	v_and_b32_e32 v13, 0x3ff, v13
	v_lshlrev_b32_e32 v13, 2, v13
	ds_add_u32 v13, v16 offset:35168
	s_branch .LBB7_558
.LBB7_561:
	s_or_b64 exec, exec, s[16:17]
.LBB7_562:
	s_andn2_saveexec_b64 s[16:17], s[8:9]
	s_cbranch_execz .LBB7_581
; %bb.563:
	v_lshlrev_b64 v[12:13], 2, v[2:3]
	v_add_co_u32_e32 v23, vcc, v0, v12
	v_and_b32_e32 v14, 15, v23
	v_addc_co_u32_e32 v30, vcc, v1, v13, vcc
	v_mov_b32_e32 v15, 0
	v_sub_u32_e32 v16, 16, v14
	v_lshrrev_b32_e32 v16, 2, v16
	v_cmp_ne_u64_e32 vcc, 0, v[14:15]
	v_cndmask_b32_e32 v14, 0, v16, vcc
	v_min_i32_e32 v16, v14, v24
	v_sub_u32_e32 v14, v24, v16
	v_ashrrev_i32_e32 v15, 31, v14
	v_lshrrev_b32_e32 v15, 30, v15
	v_add_u32_e32 v14, v14, v15
	v_ashrrev_i32_e32 v31, 2, v14
	s_mov_b64 s[18:19], 0
	v_ashrrev_i32_e32 v17, 31, v16
	v_cmp_gt_i32_e32 vcc, v31, v20
	s_and_saveexec_b64 s[20:21], vcc
	s_cbranch_execz .LBB7_574
; %bb.564:
	v_lshlrev_b32_e32 v18, 4, v20
	v_lshlrev_b64 v[14:15], 2, v[16:17]
	v_add_co_u32_e32 v14, vcc, v18, v14
	v_addc_co_u32_e32 v15, vcc, 0, v15, vcc
	v_add_co_u32_e32 v12, vcc, v14, v12
	v_addc_co_u32_e32 v13, vcc, v15, v13, vcc
	;; [unrolled: 2-line block ×3, first 2 shown]
	s_movk_i32 s24, 0x400
	v_mov_b32_e32 v17, 1
	v_mov_b32_e32 v32, v20
	s_branch .LBB7_566
.LBB7_565:                              ;   in Loop: Header=BB7_566 Depth=1
	s_or_b64 exec, exec, s[8:9]
	v_add_u32_e32 v32, 0x200, v32
	v_add_co_u32_e32 v18, vcc, 0x2000, v18
	v_cmp_ge_i32_e64 s[8:9], v32, v31
	s_or_b64 s[18:19], s[8:9], s[18:19]
	v_addc_co_u32_e32 v19, vcc, 0, v19, vcc
	s_andn2_b64 exec, exec, s[18:19]
	s_cbranch_execz .LBB7_574
.LBB7_566:                              ; =>This Inner Loop Header: Depth=1
	flat_load_dwordx4 v[12:15], v[18:19]
	s_waitcnt vmcnt(0) lgkmcnt(0)
	v_not_b32_e32 v33, v12
	v_and_b32_e32 v34, 0x7ffffc00, v33
	v_cmp_gt_i32_e32 vcc, 0, v12
	v_cndmask_b32_e32 v34, v34, v12, vcc
	v_xor_b32_e32 v34, v34, v22
	v_cmp_gt_u32_e32 vcc, s24, v34
	s_and_saveexec_b64 s[8:9], vcc
	s_cbranch_execz .LBB7_568
; %bb.567:                              ;   in Loop: Header=BB7_566 Depth=1
	v_ashrrev_i32_e32 v33, 31, v33
	v_xor_b32_e32 v12, v12, v33
	v_and_b32_e32 v12, 0x3ff, v12
	v_lshlrev_b32_e32 v12, 2, v12
	ds_add_u32 v12, v17 offset:35168
.LBB7_568:                              ;   in Loop: Header=BB7_566 Depth=1
	s_or_b64 exec, exec, s[8:9]
	v_not_b32_e32 v12, v13
	v_and_b32_e32 v33, 0x7ffffc00, v12
	v_cmp_gt_i32_e32 vcc, 0, v13
	v_cndmask_b32_e32 v33, v33, v13, vcc
	v_xor_b32_e32 v33, v33, v22
	v_cmp_gt_u32_e32 vcc, s24, v33
	s_and_saveexec_b64 s[8:9], vcc
	s_cbranch_execz .LBB7_570
; %bb.569:                              ;   in Loop: Header=BB7_566 Depth=1
	v_ashrrev_i32_e32 v12, 31, v12
	v_xor_b32_e32 v12, v13, v12
	v_and_b32_e32 v12, 0x3ff, v12
	v_lshlrev_b32_e32 v12, 2, v12
	ds_add_u32 v12, v17 offset:35168
.LBB7_570:                              ;   in Loop: Header=BB7_566 Depth=1
	s_or_b64 exec, exec, s[8:9]
	;; [unrolled: 16-line block ×3, first 2 shown]
	v_not_b32_e32 v12, v15
	v_and_b32_e32 v13, 0x7ffffc00, v12
	v_cmp_gt_i32_e32 vcc, 0, v15
	v_cndmask_b32_e32 v13, v13, v15, vcc
	v_xor_b32_e32 v13, v13, v22
	v_cmp_gt_u32_e32 vcc, s24, v13
	s_and_saveexec_b64 s[8:9], vcc
	s_cbranch_execz .LBB7_565
; %bb.573:                              ;   in Loop: Header=BB7_566 Depth=1
	v_ashrrev_i32_e32 v12, 31, v12
	v_xor_b32_e32 v12, v15, v12
	v_and_b32_e32 v12, 0x3ff, v12
	v_lshlrev_b32_e32 v12, 2, v12
	ds_add_u32 v12, v17 offset:35168
	s_branch .LBB7_565
.LBB7_574:
	s_or_b64 exec, exec, s[20:21]
	v_cmp_gt_u32_e32 vcc, v16, v20
	s_and_saveexec_b64 s[8:9], vcc
	s_cbranch_execz .LBB7_577
; %bb.575:
	v_add_co_u32_e32 v12, vcc, v23, v21
	v_addc_co_u32_e32 v13, vcc, 0, v30, vcc
	flat_load_dword v12, v[12:13]
	s_movk_i32 s18, 0x400
	s_waitcnt vmcnt(0) lgkmcnt(0)
	v_not_b32_e32 v13, v12
	v_and_b32_e32 v14, 0x7ffffc00, v13
	v_cmp_gt_i32_e32 vcc, 0, v12
	v_cndmask_b32_e32 v14, v14, v12, vcc
	v_xor_b32_e32 v14, v14, v22
	v_cmp_gt_u32_e32 vcc, s18, v14
	s_and_b64 exec, exec, vcc
	s_cbranch_execz .LBB7_577
; %bb.576:
	v_ashrrev_i32_e32 v13, 31, v13
	v_xor_b32_e32 v12, v12, v13
	v_and_b32_e32 v12, 0x3ff, v12
	v_lshlrev_b32_e32 v12, 2, v12
	v_mov_b32_e32 v13, 1
	ds_add_u32 v12, v13 offset:35168
.LBB7_577:
	s_or_b64 exec, exec, s[8:9]
	v_lshlrev_b32_e32 v12, 2, v31
	v_add3_u32 v12, v16, v20, v12
	v_cmp_lt_i32_e32 vcc, v12, v24
	s_and_saveexec_b64 s[8:9], vcc
	s_cbranch_execz .LBB7_580
; %bb.578:
	v_ashrrev_i32_e32 v13, 31, v12
	v_lshlrev_b64 v[12:13], 2, v[12:13]
	v_add_co_u32_e32 v12, vcc, v23, v12
	v_addc_co_u32_e32 v13, vcc, v30, v13, vcc
	flat_load_dword v12, v[12:13]
	s_movk_i32 s18, 0x400
	s_waitcnt vmcnt(0) lgkmcnt(0)
	v_not_b32_e32 v13, v12
	v_and_b32_e32 v14, 0x7ffffc00, v13
	v_cmp_gt_i32_e32 vcc, 0, v12
	v_cndmask_b32_e32 v14, v14, v12, vcc
	v_xor_b32_e32 v14, v14, v22
	v_cmp_gt_u32_e32 vcc, s18, v14
	s_and_b64 exec, exec, vcc
	s_cbranch_execz .LBB7_580
; %bb.579:
	v_ashrrev_i32_e32 v13, 31, v13
	v_xor_b32_e32 v12, v12, v13
	v_and_b32_e32 v12, 0x3ff, v12
	v_lshlrev_b32_e32 v12, 2, v12
	v_mov_b32_e32 v13, 1
	ds_add_u32 v12, v13 offset:35168
.LBB7_580:
	s_or_b64 exec, exec, s[8:9]
.LBB7_581:
	s_or_b64 exec, exec, s[16:17]
	s_waitcnt lgkmcnt(0)
	s_barrier
	v_mov_b32_e32 v13, 0
	ds_read_b32 v14, v29 offset:2112
	ds_read_b32 v12, v13 offset:49448
	s_waitcnt lgkmcnt(0)
	s_barrier
	ds_write_b32 v27, v14
	s_waitcnt lgkmcnt(0)
	s_barrier
	s_and_saveexec_b64 s[8:9], s[10:11]
	s_cbranch_execz .LBB7_583
; %bb.582:
	ds_read2_b32 v[16:17], v25 offset1:1
	ds_read2_b32 v[18:19], v25 offset0:2 offset1:3
	ds_read2_b32 v[30:31], v25 offset0:4 offset1:5
	;; [unrolled: 1-line block ×3, first 2 shown]
	v_mbcnt_lo_u32_b32 v15, -1, 0
	s_waitcnt lgkmcnt(3)
	v_add_u32_e32 v23, v17, v16
	s_waitcnt lgkmcnt(2)
	v_add3_u32 v23, v23, v18, v19
	s_waitcnt lgkmcnt(1)
	v_add3_u32 v23, v23, v30, v31
	v_mbcnt_hi_u32_b32 v15, -1, v15
	s_waitcnt lgkmcnt(0)
	v_add3_u32 v23, v23, v32, v33
	v_and_b32_e32 v34, 15, v15
	v_cmp_ne_u32_e32 vcc, 0, v34
	v_mov_b32_dpp v35, v23 row_shr:1 row_mask:0xf bank_mask:0xf
	v_cndmask_b32_e32 v35, 0, v35, vcc
	v_add_u32_e32 v23, v35, v23
	v_cmp_lt_u32_e32 vcc, 1, v34
	s_nop 0
	v_mov_b32_dpp v35, v23 row_shr:2 row_mask:0xf bank_mask:0xf
	v_cndmask_b32_e32 v35, 0, v35, vcc
	v_add_u32_e32 v23, v23, v35
	v_cmp_lt_u32_e32 vcc, 3, v34
	s_nop 0
	;; [unrolled: 5-line block ×3, first 2 shown]
	v_mov_b32_dpp v35, v23 row_shr:8 row_mask:0xf bank_mask:0xf
	v_cndmask_b32_e32 v34, 0, v35, vcc
	v_add_u32_e32 v23, v23, v34
	v_bfe_i32 v35, v15, 4, 1
	v_cmp_lt_u32_e32 vcc, 31, v15
	v_mov_b32_dpp v34, v23 row_bcast:15 row_mask:0xf bank_mask:0xf
	v_and_b32_e32 v34, v35, v34
	v_add_u32_e32 v23, v23, v34
	v_and_b32_e32 v35, 64, v15
	s_nop 0
	v_mov_b32_dpp v34, v23 row_bcast:31 row_mask:0xf bank_mask:0xf
	v_cndmask_b32_e32 v34, 0, v34, vcc
	v_add_u32_e32 v23, v23, v34
	v_add_u32_e32 v34, -1, v15
	v_cmp_lt_i32_e32 vcc, v34, v35
	v_cndmask_b32_e32 v15, v34, v15, vcc
	v_lshlrev_b32_e32 v15, 2, v15
	ds_bpermute_b32 v15, v15, v23
	s_waitcnt lgkmcnt(0)
	v_add_u32_e32 v15, v15, v16
	v_cndmask_b32_e64 v14, v15, v14, s[22:23]
	v_add_u32_e32 v15, v14, v17
	ds_write2_b32 v25, v14, v15 offset1:1
	v_add_u32_e32 v14, v15, v18
	v_add_u32_e32 v15, v14, v19
	ds_write2_b32 v25, v14, v15 offset0:2 offset1:3
	v_add_u32_e32 v14, v15, v30
	v_add_u32_e32 v15, v14, v31
	ds_write2_b32 v25, v14, v15 offset0:4 offset1:5
	;; [unrolled: 3-line block ×3, first 2 shown]
.LBB7_583:
	s_or_b64 exec, exec, s[8:9]
	s_waitcnt lgkmcnt(0)
	s_barrier
	s_and_saveexec_b64 s[8:9], s[6:7]
	s_cbranch_execz .LBB7_585
; %bb.584:
	ds_read_b32 v13, v26
.LBB7_585:
	s_or_b64 exec, exec, s[8:9]
	v_mov_b32_e32 v14, 0
	ds_read_b32 v15, v14 offset:35160
	s_waitcnt lgkmcnt(1)
	v_add_u32_e32 v13, v13, v12
	v_cmp_lt_i32_e32 vcc, v13, v9
	ds_write_b32 v29, v13 offset:2112
	s_waitcnt lgkmcnt(0)
	v_add_u32_e32 v12, v15, v12
	s_barrier
	s_and_saveexec_b64 s[8:9], vcc
	s_cbranch_execz .LBB7_591
; %bb.586:
	v_mov_b32_e32 v15, v12
	s_and_saveexec_b64 s[16:17], s[12:13]
	s_cbranch_execz .LBB7_588
; %bb.587:
	ds_read_b32 v15, v11 offset:4
.LBB7_588:
	s_or_b64 exec, exec, s[16:17]
	s_waitcnt lgkmcnt(0)
	v_cmp_ge_i32_e32 vcc, v15, v9
	v_mov_b32_e32 v14, 0
	s_and_saveexec_b64 s[16:17], vcc
	s_cbranch_execz .LBB7_590
; %bb.589:
	s_mov_b32 s18, 0xc000
	v_sub_u32_e32 v13, v15, v13
	v_add_u32_e64 v14, s18, 0
	ds_write2_b32 v14, v13, v20 offset0:73 offset1:75
	v_mov_b32_e32 v14, 1
.LBB7_590:
	s_or_b64 exec, exec, s[16:17]
.LBB7_591:
	s_or_b64 exec, exec, s[8:9]
	v_or_b32_dpp v13, v14, v14 row_shl:1 row_mask:0xf bank_mask:0xf bound_ctrl:1
	s_bitcmp1_b32 exec_hi, 0
	s_nop 0
	v_or_b32_dpp v13, v13, v13 row_shl:2 row_mask:0xf bank_mask:0xf bound_ctrl:1
	s_nop 1
	v_or_b32_dpp v13, v13, v13 row_shl:4 row_mask:0xf bank_mask:0xf bound_ctrl:1
	;; [unrolled: 2-line block ×3, first 2 shown]
	s_nop 1
	v_mov_b32_dpp v14, v13 wave_shl:1 row_mask:0xf bank_mask:0xf bound_ctrl:1
	s_nop 1
	v_or_b32_dpp v13, v14, v13 row_mirror row_mask:0xf bank_mask:0xf bound_ctrl:1
	v_readlane_b32 s8, v13, 32
	s_cselect_b32 s8, s8, 0
	v_readlane_b32 s9, v13, 0
	s_or_b32 s18, s8, s9
	v_cndmask_b32_e64 v13, 0, 1, s[54:55]
	v_cmp_ne_u32_e64 s[8:9], 1, v13
	s_andn2_b64 vcc, exec, s[54:55]
	v_mov_b32_e32 v13, s18
	s_cbranch_vccnz .LBB7_598
; %bb.592:
	v_mbcnt_lo_u32_b32 v13, -1, 0
	v_mbcnt_hi_u32_b32 v13, -1, v13
	v_or_b32_e32 v14, v13, v28
	v_cmp_eq_u32_e32 vcc, 0, v14
	s_and_saveexec_b64 s[16:17], vcc
	s_cbranch_execz .LBB7_594
; %bb.593:
	v_mov_b32_e32 v14, 0
	v_mov_b32_e32 v15, s18
	ds_write_b32 v14, v15 offset:32768
.LBB7_594:
	s_or_b64 exec, exec, s[16:17]
	v_cmp_eq_u32_e32 vcc, 0, v13
	s_and_b64 s[20:21], s[14:15], vcc
	s_waitcnt lgkmcnt(0)
	s_barrier
	s_and_saveexec_b64 s[16:17], s[20:21]
	s_cbranch_execz .LBB7_597
; %bb.595:
	v_mbcnt_lo_u32_b32 v13, exec_lo, 0
	v_mbcnt_hi_u32_b32 v13, exec_hi, v13
	v_cmp_eq_u32_e32 vcc, 0, v13
	s_and_b64 exec, exec, vcc
	s_cbranch_execz .LBB7_597
; %bb.596:
	v_mov_b32_e32 v13, 0
	v_mov_b32_e32 v14, s18
	ds_or_b32 v13, v14 offset:32768
.LBB7_597:
	s_or_b64 exec, exec, s[16:17]
	v_mov_b32_e32 v13, 0
	s_waitcnt lgkmcnt(0)
	s_barrier
	ds_read_b32 v13, v13 offset:32768
	s_waitcnt lgkmcnt(0)
	s_barrier
.LBB7_598:
	v_cmp_eq_u32_e32 vcc, 0, v13
	s_cbranch_vccz .LBB7_652
; %bb.599:
	ds_read_b32 v13, v11 offset:2048
	s_waitcnt lgkmcnt(0)
	s_barrier
	ds_write_b32 v27, v13
	s_waitcnt lgkmcnt(0)
	s_barrier
	s_and_saveexec_b64 s[16:17], s[10:11]
	s_cbranch_execz .LBB7_601
; %bb.600:
	ds_read2_b32 v[14:15], v25 offset1:1
	ds_read2_b32 v[16:17], v25 offset0:2 offset1:3
	ds_read2_b32 v[18:19], v25 offset0:4 offset1:5
	;; [unrolled: 1-line block ×3, first 2 shown]
	v_mbcnt_lo_u32_b32 v23, -1, 0
	s_waitcnt lgkmcnt(3)
	v_add_u32_e32 v29, v15, v14
	s_waitcnt lgkmcnt(2)
	v_add3_u32 v29, v29, v16, v17
	s_waitcnt lgkmcnt(1)
	v_add3_u32 v29, v29, v18, v19
	v_mbcnt_hi_u32_b32 v23, -1, v23
	s_waitcnt lgkmcnt(0)
	v_add3_u32 v29, v29, v30, v31
	v_and_b32_e32 v32, 15, v23
	v_cmp_ne_u32_e32 vcc, 0, v32
	v_mov_b32_dpp v33, v29 row_shr:1 row_mask:0xf bank_mask:0xf
	v_cndmask_b32_e32 v33, 0, v33, vcc
	v_add_u32_e32 v29, v33, v29
	v_cmp_lt_u32_e32 vcc, 1, v32
	s_nop 0
	v_mov_b32_dpp v33, v29 row_shr:2 row_mask:0xf bank_mask:0xf
	v_cndmask_b32_e32 v33, 0, v33, vcc
	v_add_u32_e32 v29, v29, v33
	v_cmp_lt_u32_e32 vcc, 3, v32
	s_nop 0
	;; [unrolled: 5-line block ×3, first 2 shown]
	v_mov_b32_dpp v33, v29 row_shr:8 row_mask:0xf bank_mask:0xf
	v_cndmask_b32_e32 v32, 0, v33, vcc
	v_add_u32_e32 v29, v29, v32
	v_bfe_i32 v33, v23, 4, 1
	v_cmp_lt_u32_e32 vcc, 31, v23
	v_mov_b32_dpp v32, v29 row_bcast:15 row_mask:0xf bank_mask:0xf
	v_and_b32_e32 v32, v33, v32
	v_add_u32_e32 v29, v29, v32
	v_and_b32_e32 v33, 64, v23
	s_nop 0
	v_mov_b32_dpp v32, v29 row_bcast:31 row_mask:0xf bank_mask:0xf
	v_cndmask_b32_e32 v32, 0, v32, vcc
	v_add_u32_e32 v29, v29, v32
	v_add_u32_e32 v32, -1, v23
	v_cmp_lt_i32_e32 vcc, v32, v33
	v_cndmask_b32_e32 v23, v32, v23, vcc
	v_lshlrev_b32_e32 v23, 2, v23
	ds_bpermute_b32 v23, v23, v29
	s_waitcnt lgkmcnt(0)
	v_add_u32_e32 v14, v23, v14
	v_cndmask_b32_e64 v13, v14, v13, s[22:23]
	v_add_u32_e32 v14, v13, v15
	ds_write2_b32 v25, v13, v14 offset1:1
	v_add_u32_e32 v13, v14, v16
	v_add_u32_e32 v14, v13, v17
	ds_write2_b32 v25, v13, v14 offset0:2 offset1:3
	v_add_u32_e32 v13, v14, v18
	v_add_u32_e32 v14, v13, v19
	ds_write2_b32 v25, v13, v14 offset0:4 offset1:5
	;; [unrolled: 3-line block ×3, first 2 shown]
.LBB7_601:
	s_or_b64 exec, exec, s[16:17]
	v_mov_b32_e32 v13, 0
	v_mov_b32_e32 v14, 0
	s_waitcnt lgkmcnt(0)
	s_barrier
	s_and_saveexec_b64 s[16:17], s[6:7]
	s_cbranch_execz .LBB7_603
; %bb.602:
	ds_read_b32 v14, v26
.LBB7_603:
	s_or_b64 exec, exec, s[16:17]
	ds_read_b32 v15, v13 offset:35160
	s_waitcnt lgkmcnt(1)
	v_add_u32_e32 v14, v14, v12
	v_cmp_lt_i32_e32 vcc, v14, v9
	ds_write_b32 v11, v14 offset:2048
	s_waitcnt lgkmcnt(0)
	v_add_u32_e32 v12, v15, v12
	s_barrier
	s_and_saveexec_b64 s[16:17], vcc
	s_cbranch_execz .LBB7_609
; %bb.604:
	v_mov_b32_e32 v15, v12
	s_and_saveexec_b64 s[18:19], s[12:13]
	s_cbranch_execz .LBB7_606
; %bb.605:
	ds_read_b32 v15, v11 offset:2052
.LBB7_606:
	s_or_b64 exec, exec, s[18:19]
	s_waitcnt lgkmcnt(0)
	v_cmp_ge_i32_e32 vcc, v15, v9
	v_mov_b32_e32 v13, 0
	s_and_saveexec_b64 s[18:19], vcc
	s_cbranch_execz .LBB7_608
; %bb.607:
	s_mov_b32 s20, 0xc000
	v_add_u32_e32 v13, 0x200, v20
	v_sub_u32_e32 v14, v15, v14
	v_add_u32_e64 v15, s20, 0
	ds_write2_b32 v15, v14, v13 offset0:73 offset1:75
	v_mov_b32_e32 v13, 1
.LBB7_608:
	s_or_b64 exec, exec, s[18:19]
.LBB7_609:
	s_or_b64 exec, exec, s[16:17]
	v_or_b32_dpp v13, v13, v13 row_shl:1 row_mask:0xf bank_mask:0xf bound_ctrl:1
	s_bitcmp1_b32 exec_hi, 0
	s_nop 0
	v_or_b32_dpp v13, v13, v13 row_shl:2 row_mask:0xf bank_mask:0xf bound_ctrl:1
	s_nop 1
	v_or_b32_dpp v13, v13, v13 row_shl:4 row_mask:0xf bank_mask:0xf bound_ctrl:1
	;; [unrolled: 2-line block ×3, first 2 shown]
	s_nop 1
	v_mov_b32_dpp v14, v13 wave_shl:1 row_mask:0xf bank_mask:0xf bound_ctrl:1
	s_nop 1
	v_or_b32_dpp v13, v14, v13 row_mirror row_mask:0xf bank_mask:0xf bound_ctrl:1
	v_readlane_b32 s16, v13, 32
	s_cselect_b32 s16, s16, 0
	v_readlane_b32 s17, v13, 0
	s_or_b32 s18, s16, s17
	s_and_b64 vcc, exec, s[8:9]
	v_mov_b32_e32 v13, s18
	s_cbranch_vccnz .LBB7_616
; %bb.610:
	v_mbcnt_lo_u32_b32 v13, -1, 0
	v_mbcnt_hi_u32_b32 v13, -1, v13
	v_or_b32_e32 v14, v13, v28
	v_cmp_eq_u32_e32 vcc, 0, v14
	s_and_saveexec_b64 s[16:17], vcc
	s_cbranch_execz .LBB7_612
; %bb.611:
	v_mov_b32_e32 v14, 0
	v_mov_b32_e32 v15, s18
	ds_write_b32 v14, v15 offset:32768
.LBB7_612:
	s_or_b64 exec, exec, s[16:17]
	v_cmp_eq_u32_e32 vcc, 0, v13
	s_and_b64 s[20:21], s[14:15], vcc
	s_waitcnt lgkmcnt(0)
	s_barrier
	s_and_saveexec_b64 s[16:17], s[20:21]
	s_cbranch_execz .LBB7_615
; %bb.613:
	v_mbcnt_lo_u32_b32 v13, exec_lo, 0
	v_mbcnt_hi_u32_b32 v13, exec_hi, v13
	v_cmp_eq_u32_e32 vcc, 0, v13
	s_and_b64 exec, exec, vcc
	s_cbranch_execz .LBB7_615
; %bb.614:
	v_mov_b32_e32 v13, 0
	v_mov_b32_e32 v14, s18
	ds_or_b32 v13, v14 offset:32768
.LBB7_615:
	s_or_b64 exec, exec, s[16:17]
	v_mov_b32_e32 v13, 0
	s_waitcnt lgkmcnt(0)
	s_barrier
	ds_read_b32 v13, v13 offset:32768
	s_waitcnt lgkmcnt(0)
	s_barrier
.LBB7_616:
	v_cmp_ne_u32_e32 vcc, 0, v13
	s_cbranch_vccnz .LBB7_652
; %bb.617:
	ds_read_b32 v13, v11 offset:4096
	s_waitcnt lgkmcnt(0)
	s_barrier
	ds_write_b32 v27, v13
	s_waitcnt lgkmcnt(0)
	s_barrier
	s_and_saveexec_b64 s[16:17], s[10:11]
	s_cbranch_execz .LBB7_619
; %bb.618:
	ds_read2_b32 v[14:15], v25 offset1:1
	ds_read2_b32 v[16:17], v25 offset0:2 offset1:3
	ds_read2_b32 v[18:19], v25 offset0:4 offset1:5
	;; [unrolled: 1-line block ×3, first 2 shown]
	v_mbcnt_lo_u32_b32 v23, -1, 0
	s_waitcnt lgkmcnt(3)
	v_add_u32_e32 v29, v15, v14
	s_waitcnt lgkmcnt(2)
	v_add3_u32 v29, v29, v16, v17
	s_waitcnt lgkmcnt(1)
	v_add3_u32 v29, v29, v18, v19
	v_mbcnt_hi_u32_b32 v23, -1, v23
	s_waitcnt lgkmcnt(0)
	v_add3_u32 v29, v29, v30, v31
	v_and_b32_e32 v32, 15, v23
	v_cmp_ne_u32_e32 vcc, 0, v32
	v_mov_b32_dpp v33, v29 row_shr:1 row_mask:0xf bank_mask:0xf
	v_cndmask_b32_e32 v33, 0, v33, vcc
	v_add_u32_e32 v29, v33, v29
	v_cmp_lt_u32_e32 vcc, 1, v32
	s_nop 0
	v_mov_b32_dpp v33, v29 row_shr:2 row_mask:0xf bank_mask:0xf
	v_cndmask_b32_e32 v33, 0, v33, vcc
	v_add_u32_e32 v29, v29, v33
	v_cmp_lt_u32_e32 vcc, 3, v32
	s_nop 0
	;; [unrolled: 5-line block ×3, first 2 shown]
	v_mov_b32_dpp v33, v29 row_shr:8 row_mask:0xf bank_mask:0xf
	v_cndmask_b32_e32 v32, 0, v33, vcc
	v_add_u32_e32 v29, v29, v32
	v_bfe_i32 v33, v23, 4, 1
	v_cmp_lt_u32_e32 vcc, 31, v23
	v_mov_b32_dpp v32, v29 row_bcast:15 row_mask:0xf bank_mask:0xf
	v_and_b32_e32 v32, v33, v32
	v_add_u32_e32 v29, v29, v32
	v_and_b32_e32 v33, 64, v23
	s_nop 0
	v_mov_b32_dpp v32, v29 row_bcast:31 row_mask:0xf bank_mask:0xf
	v_cndmask_b32_e32 v32, 0, v32, vcc
	v_add_u32_e32 v29, v29, v32
	v_add_u32_e32 v32, -1, v23
	v_cmp_lt_i32_e32 vcc, v32, v33
	v_cndmask_b32_e32 v23, v32, v23, vcc
	v_lshlrev_b32_e32 v23, 2, v23
	ds_bpermute_b32 v23, v23, v29
	s_waitcnt lgkmcnt(0)
	v_add_u32_e32 v14, v23, v14
	v_cndmask_b32_e64 v13, v14, v13, s[22:23]
	v_add_u32_e32 v14, v13, v15
	ds_write2_b32 v25, v13, v14 offset1:1
	v_add_u32_e32 v13, v14, v16
	v_add_u32_e32 v14, v13, v17
	ds_write2_b32 v25, v13, v14 offset0:2 offset1:3
	v_add_u32_e32 v13, v14, v18
	v_add_u32_e32 v14, v13, v19
	ds_write2_b32 v25, v13, v14 offset0:4 offset1:5
	;; [unrolled: 3-line block ×3, first 2 shown]
.LBB7_619:
	s_or_b64 exec, exec, s[16:17]
	v_mov_b32_e32 v13, 0
	v_mov_b32_e32 v14, 0
	s_waitcnt lgkmcnt(0)
	s_barrier
	s_and_saveexec_b64 s[16:17], s[6:7]
	s_cbranch_execz .LBB7_621
; %bb.620:
	ds_read_b32 v14, v26
.LBB7_621:
	s_or_b64 exec, exec, s[16:17]
	ds_read_b32 v15, v13 offset:35160
	s_waitcnt lgkmcnt(1)
	v_add_u32_e32 v14, v14, v12
	v_cmp_lt_i32_e32 vcc, v14, v9
	ds_write_b32 v11, v14 offset:4096
	s_waitcnt lgkmcnt(0)
	v_add_u32_e32 v12, v15, v12
	s_barrier
	s_and_saveexec_b64 s[16:17], vcc
	s_cbranch_execz .LBB7_627
; %bb.622:
	v_mov_b32_e32 v15, v12
	s_and_saveexec_b64 s[18:19], s[12:13]
	s_cbranch_execz .LBB7_624
; %bb.623:
	ds_read_b32 v15, v11 offset:4100
.LBB7_624:
	s_or_b64 exec, exec, s[18:19]
	s_waitcnt lgkmcnt(0)
	v_cmp_ge_i32_e32 vcc, v15, v9
	v_mov_b32_e32 v13, 0
	s_and_saveexec_b64 s[18:19], vcc
	s_cbranch_execz .LBB7_626
; %bb.625:
	s_mov_b32 s20, 0xc000
	v_or_b32_e32 v13, 0x400, v20
	v_sub_u32_e32 v14, v15, v14
	v_add_u32_e64 v15, s20, 0
	ds_write2_b32 v15, v14, v13 offset0:73 offset1:75
	v_mov_b32_e32 v13, 1
.LBB7_626:
	s_or_b64 exec, exec, s[18:19]
.LBB7_627:
	s_or_b64 exec, exec, s[16:17]
	v_or_b32_dpp v13, v13, v13 row_shl:1 row_mask:0xf bank_mask:0xf bound_ctrl:1
	s_bitcmp1_b32 exec_hi, 0
	s_nop 0
	v_or_b32_dpp v13, v13, v13 row_shl:2 row_mask:0xf bank_mask:0xf bound_ctrl:1
	s_nop 1
	v_or_b32_dpp v13, v13, v13 row_shl:4 row_mask:0xf bank_mask:0xf bound_ctrl:1
	;; [unrolled: 2-line block ×3, first 2 shown]
	s_nop 1
	v_mov_b32_dpp v14, v13 wave_shl:1 row_mask:0xf bank_mask:0xf bound_ctrl:1
	s_nop 1
	v_or_b32_dpp v13, v14, v13 row_mirror row_mask:0xf bank_mask:0xf bound_ctrl:1
	v_readlane_b32 s16, v13, 32
	s_cselect_b32 s16, s16, 0
	v_readlane_b32 s17, v13, 0
	s_or_b32 s18, s16, s17
	s_and_b64 vcc, exec, s[8:9]
	v_mov_b32_e32 v13, s18
	s_cbranch_vccnz .LBB7_634
; %bb.628:
	v_mbcnt_lo_u32_b32 v13, -1, 0
	v_mbcnt_hi_u32_b32 v13, -1, v13
	v_or_b32_e32 v14, v13, v28
	v_cmp_eq_u32_e32 vcc, 0, v14
	s_and_saveexec_b64 s[16:17], vcc
	s_cbranch_execz .LBB7_630
; %bb.629:
	v_mov_b32_e32 v14, 0
	v_mov_b32_e32 v15, s18
	ds_write_b32 v14, v15 offset:32768
.LBB7_630:
	s_or_b64 exec, exec, s[16:17]
	v_cmp_eq_u32_e32 vcc, 0, v13
	s_and_b64 s[20:21], s[14:15], vcc
	s_waitcnt lgkmcnt(0)
	s_barrier
	s_and_saveexec_b64 s[16:17], s[20:21]
	s_cbranch_execz .LBB7_633
; %bb.631:
	v_mbcnt_lo_u32_b32 v13, exec_lo, 0
	v_mbcnt_hi_u32_b32 v13, exec_hi, v13
	v_cmp_eq_u32_e32 vcc, 0, v13
	s_and_b64 exec, exec, vcc
	s_cbranch_execz .LBB7_633
; %bb.632:
	v_mov_b32_e32 v13, 0
	v_mov_b32_e32 v14, s18
	ds_or_b32 v13, v14 offset:32768
.LBB7_633:
	s_or_b64 exec, exec, s[16:17]
	v_mov_b32_e32 v13, 0
	s_waitcnt lgkmcnt(0)
	s_barrier
	ds_read_b32 v13, v13 offset:32768
	s_waitcnt lgkmcnt(0)
	s_barrier
.LBB7_634:
	v_cmp_ne_u32_e32 vcc, 0, v13
	s_cbranch_vccnz .LBB7_652
; %bb.635:
	ds_read_b32 v14, v11 offset:6144
	v_mbcnt_lo_u32_b32 v13, -1, 0
	s_waitcnt lgkmcnt(0)
	s_barrier
	ds_write_b32 v27, v14
	s_waitcnt lgkmcnt(0)
	s_barrier
	s_and_saveexec_b64 s[16:17], s[10:11]
	s_cbranch_execz .LBB7_637
; %bb.636:
	ds_read2_b32 v[16:17], v25 offset1:1
	ds_read2_b32 v[18:19], v25 offset0:2 offset1:3
	ds_read2_b32 v[30:31], v25 offset0:4 offset1:5
	;; [unrolled: 1-line block ×3, first 2 shown]
	v_mbcnt_hi_u32_b32 v15, -1, v13
	s_waitcnt lgkmcnt(3)
	v_add_u32_e32 v23, v17, v16
	s_waitcnt lgkmcnt(2)
	v_add3_u32 v23, v23, v18, v19
	s_waitcnt lgkmcnt(1)
	v_add3_u32 v23, v23, v30, v31
	;; [unrolled: 2-line block ×3, first 2 shown]
	v_and_b32_e32 v27, 15, v15
	v_cmp_ne_u32_e32 vcc, 0, v27
	v_mov_b32_dpp v29, v23 row_shr:1 row_mask:0xf bank_mask:0xf
	v_cndmask_b32_e32 v29, 0, v29, vcc
	v_add_u32_e32 v23, v29, v23
	v_cmp_lt_u32_e32 vcc, 1, v27
	s_nop 0
	v_mov_b32_dpp v29, v23 row_shr:2 row_mask:0xf bank_mask:0xf
	v_cndmask_b32_e32 v29, 0, v29, vcc
	v_add_u32_e32 v23, v23, v29
	v_cmp_lt_u32_e32 vcc, 3, v27
	s_nop 0
	;; [unrolled: 5-line block ×3, first 2 shown]
	v_mov_b32_dpp v29, v23 row_shr:8 row_mask:0xf bank_mask:0xf
	v_cndmask_b32_e32 v27, 0, v29, vcc
	v_add_u32_e32 v23, v23, v27
	v_bfe_i32 v29, v15, 4, 1
	v_cmp_lt_u32_e32 vcc, 31, v15
	v_mov_b32_dpp v27, v23 row_bcast:15 row_mask:0xf bank_mask:0xf
	v_and_b32_e32 v27, v29, v27
	v_add_u32_e32 v23, v23, v27
	v_and_b32_e32 v29, 64, v15
	s_nop 0
	v_mov_b32_dpp v27, v23 row_bcast:31 row_mask:0xf bank_mask:0xf
	v_cndmask_b32_e32 v27, 0, v27, vcc
	v_add_u32_e32 v23, v23, v27
	v_add_u32_e32 v27, -1, v15
	v_cmp_lt_i32_e32 vcc, v27, v29
	v_cndmask_b32_e32 v15, v27, v15, vcc
	v_lshlrev_b32_e32 v15, 2, v15
	ds_bpermute_b32 v15, v15, v23
	s_waitcnt lgkmcnt(0)
	v_add_u32_e32 v15, v15, v16
	v_cndmask_b32_e64 v14, v15, v14, s[22:23]
	v_add_u32_e32 v15, v14, v17
	ds_write2_b32 v25, v14, v15 offset1:1
	v_add_u32_e32 v14, v15, v18
	v_add_u32_e32 v15, v14, v19
	ds_write2_b32 v25, v14, v15 offset0:2 offset1:3
	v_add_u32_e32 v14, v15, v30
	v_add_u32_e32 v15, v14, v31
	ds_write2_b32 v25, v14, v15 offset0:4 offset1:5
	;; [unrolled: 3-line block ×3, first 2 shown]
.LBB7_637:
	s_or_b64 exec, exec, s[16:17]
	v_mov_b32_e32 v14, 0
	v_mov_b32_e32 v15, 0
	s_waitcnt lgkmcnt(0)
	s_barrier
	s_and_saveexec_b64 s[10:11], s[6:7]
	s_cbranch_execz .LBB7_639
; %bb.638:
	ds_read_b32 v15, v26
.LBB7_639:
	s_or_b64 exec, exec, s[10:11]
	ds_read_b32 v16, v14 offset:35160
	s_waitcnt lgkmcnt(1)
	v_add_u32_e32 v15, v15, v12
	v_cmp_lt_i32_e32 vcc, v15, v9
	ds_write_b32 v11, v15 offset:6144
	s_waitcnt lgkmcnt(0)
	s_barrier
	s_and_saveexec_b64 s[6:7], vcc
	s_cbranch_execz .LBB7_645
; %bb.640:
	v_add_u32_e32 v12, v16, v12
	s_and_saveexec_b64 s[10:11], s[12:13]
	s_cbranch_execz .LBB7_642
; %bb.641:
	ds_read_b32 v12, v11 offset:6148
.LBB7_642:
	s_or_b64 exec, exec, s[10:11]
	s_waitcnt lgkmcnt(0)
	v_cmp_ge_i32_e32 vcc, v12, v9
	v_mov_b32_e32 v14, 0
	s_and_saveexec_b64 s[10:11], vcc
	s_cbranch_execz .LBB7_644
; %bb.643:
	s_mov_b32 s12, 0xc000
	v_add_u32_e32 v11, 0x600, v20
	v_sub_u32_e32 v12, v12, v15
	v_add_u32_e64 v14, s12, 0
	ds_write2_b32 v14, v12, v11 offset0:73 offset1:75
	v_mov_b32_e32 v14, 1
.LBB7_644:
	s_or_b64 exec, exec, s[10:11]
.LBB7_645:
	s_or_b64 exec, exec, s[6:7]
	v_or_b32_dpp v11, v14, v14 row_shl:1 row_mask:0xf bank_mask:0xf bound_ctrl:1
	s_and_b64 vcc, exec, s[8:9]
	s_nop 0
	v_or_b32_dpp v11, v11, v11 row_shl:2 row_mask:0xf bank_mask:0xf bound_ctrl:1
	s_nop 1
	v_or_b32_dpp v11, v11, v11 row_shl:4 row_mask:0xf bank_mask:0xf bound_ctrl:1
	;; [unrolled: 2-line block ×3, first 2 shown]
	s_nop 1
	v_mov_b32_dpp v12, v11 wave_shl:1 row_mask:0xf bank_mask:0xf bound_ctrl:1
	s_nop 1
	v_or_b32_dpp v11, v12, v11 row_mirror row_mask:0xf bank_mask:0xf bound_ctrl:1
	v_readlane_b32 s6, v11, 32
	v_readlane_b32 s7, v11, 0
	s_cbranch_vccnz .LBB7_652
; %bb.646:
	s_bitcmp1_b32 exec_hi, 0
	v_mbcnt_hi_u32_b32 v11, -1, v13
	s_cselect_b32 s6, s6, 0
	v_or_b32_e32 v12, v11, v28
	s_or_b32 s8, s6, s7
	v_cmp_eq_u32_e32 vcc, 0, v12
	s_and_saveexec_b64 s[6:7], vcc
	s_cbranch_execz .LBB7_648
; %bb.647:
	v_mov_b32_e32 v12, 0
	v_mov_b32_e32 v13, s8
	ds_write_b32 v12, v13 offset:32768
.LBB7_648:
	s_or_b64 exec, exec, s[6:7]
	v_cmp_eq_u32_e32 vcc, 0, v11
	s_and_b64 s[10:11], s[14:15], vcc
	s_waitcnt lgkmcnt(0)
	s_barrier
	s_and_saveexec_b64 s[6:7], s[10:11]
	s_cbranch_execz .LBB7_651
; %bb.649:
	v_mbcnt_lo_u32_b32 v11, exec_lo, 0
	v_mbcnt_hi_u32_b32 v11, exec_hi, v11
	v_cmp_eq_u32_e32 vcc, 0, v11
	s_and_b64 exec, exec, vcc
	s_cbranch_execz .LBB7_651
; %bb.650:
	v_mov_b32_e32 v11, 0
	v_mov_b32_e32 v12, s8
	ds_or_b32 v11, v12 offset:32768
.LBB7_651:
	s_or_b64 exec, exec, s[6:7]
	v_mov_b32_e32 v11, 0
	s_waitcnt lgkmcnt(0)
	s_barrier
	ds_read_b32 v11, v11 offset:32768
	s_waitcnt lgkmcnt(0)
	s_barrier
.LBB7_652:
	v_mov_b32_e32 v11, 0
	s_waitcnt lgkmcnt(0)
	s_barrier
	ds_read_b32 v18, v11 offset:49452
	s_and_saveexec_b64 s[6:7], s[4:5]
	s_xor_b64 s[4:5], exec, s[6:7]
	s_cbranch_execz .LBB7_669
; %bb.653:
	v_add_u32_e32 v11, v20, v2
	v_cmp_lt_i32_e32 vcc, v11, v10
	s_and_saveexec_b64 s[6:7], vcc
	s_cbranch_execz .LBB7_668
; %bb.654:
	s_ashr_i32 s51, s50, 31
	s_lshl_b64 s[8:9], s[50:51], 2
	s_getpc_b64 s[10:11]
	s_add_u32 s10, s10, llvm.amdgcn.dynlds.offset.table@rel32@lo+4
	s_addc_u32 s11, s11, llvm.amdgcn.dynlds.offset.table@rel32@hi+12
	s_add_u32 s8, s8, s10
	s_addc_u32 s9, s9, s11
	s_load_dword s18, s[8:9], 0x0
	s_waitcnt lgkmcnt(0)
	v_lshlrev_b32_e32 v3, 2, v18
	v_lshl_add_u32 v12, v2, 1, v20
	v_add_u32_e32 v13, 0x8120, v3
	v_mul_lo_u32 v2, v8, v11
	v_lshl_add_u32 v14, v9, 2, s18
	v_lshlrev_b32_e32 v8, 9, v8
	s_mov_b64 s[8:9], 0
	v_mov_b32_e32 v16, s18
	s_movk_i32 s19, 0x400
	v_mov_b32_e32 v15, 0
	s_branch .LBB7_658
.LBB7_655:                              ;   in Loop: Header=BB7_658 Depth=1
	s_or_b64 exec, exec, s[14:15]
.LBB7_656:                              ;   in Loop: Header=BB7_658 Depth=1
	s_or_b64 exec, exec, s[12:13]
.LBB7_657:                              ;   in Loop: Header=BB7_658 Depth=1
	s_or_b64 exec, exec, s[10:11]
	v_add_u32_e32 v11, 0x200, v11
	v_cmp_ge_i32_e32 vcc, v11, v10
	v_add_u32_e32 v12, 0x200, v12
	s_or_b64 s[8:9], vcc, s[8:9]
	v_add_u32_e32 v2, v2, v8
	s_andn2_b64 exec, exec, s[8:9]
	s_cbranch_execz .LBB7_668
.LBB7_658:                              ; =>This Inner Loop Header: Depth=1
	v_ashrrev_i32_e32 v3, 31, v2
	v_lshlrev_b64 v[24:25], 2, v[2:3]
	v_add_co_u32_e32 v24, vcc, v0, v24
	v_addc_co_u32_e32 v25, vcc, v1, v25, vcc
	flat_load_dword v3, v[24:25]
	s_waitcnt vmcnt(0) lgkmcnt(0)
	v_not_b32_e32 v17, v3
	v_and_b32_e32 v19, 0x7ffffc00, v17
	v_cmp_gt_i32_e32 vcc, 0, v3
	v_cndmask_b32_e32 v19, v19, v3, vcc
	v_xor_b32_e32 v19, v19, v22
	v_cmp_gt_u32_e32 vcc, s19, v19
	s_and_saveexec_b64 s[10:11], vcc
	s_cbranch_execz .LBB7_657
; %bb.659:                              ;   in Loop: Header=BB7_658 Depth=1
	v_ashrrev_i32_e32 v17, 31, v17
	v_xor_b32_e32 v17, v17, v3
	v_and_b32_e32 v17, 0x3ff, v17
	v_cmp_lt_u32_e32 vcc, v17, v18
	s_and_saveexec_b64 s[12:13], vcc
	s_cbranch_execz .LBB7_663
; %bb.660:                              ;   in Loop: Header=BB7_658 Depth=1
	s_mov_b64 s[16:17], exec
	v_mbcnt_lo_u32_b32 v19, s16, 0
	v_mbcnt_hi_u32_b32 v19, s17, v19
	v_cmp_eq_u32_e32 vcc, 0, v19
                                        ; implicit-def: $vgpr23
	s_and_saveexec_b64 s[14:15], vcc
	s_cbranch_execz .LBB7_662
; %bb.661:                              ;   in Loop: Header=BB7_658 Depth=1
	s_bcnt1_i32_b64 s16, s[16:17]
	v_mov_b32_e32 v23, s16
	ds_add_rtn_u32 v23, v15, v23 offset:49448
.LBB7_662:                              ;   in Loop: Header=BB7_658 Depth=1
	s_or_b64 exec, exec, s[14:15]
	s_waitcnt lgkmcnt(0)
	v_readfirstlane_b32 s14, v23
	v_add_lshl_u32 v19, s14, v19, 2
	v_add_u32_e32 v23, v16, v19
	v_add_u32_e32 v19, v14, v19
	ds_write_b32 v23, v12
	ds_write_b32 v19, v3
.LBB7_663:                              ;   in Loop: Header=BB7_658 Depth=1
	s_or_b64 exec, exec, s[12:13]
	v_cmp_eq_u32_e32 vcc, v17, v18
	s_and_saveexec_b64 s[12:13], vcc
	s_cbranch_execz .LBB7_656
; %bb.664:                              ;   in Loop: Header=BB7_658 Depth=1
	s_mov_b64 s[16:17], exec
	v_mbcnt_lo_u32_b32 v17, s16, 0
	v_mbcnt_hi_u32_b32 v17, s17, v17
	v_cmp_eq_u32_e32 vcc, 0, v17
                                        ; implicit-def: $vgpr19
	s_and_saveexec_b64 s[14:15], vcc
	s_cbranch_execz .LBB7_666
; %bb.665:                              ;   in Loop: Header=BB7_658 Depth=1
	s_bcnt1_i32_b64 s16, s[16:17]
	v_mov_b32_e32 v19, s16
	ds_add_rtn_u32 v19, v13, v19 offset:2112
.LBB7_666:                              ;   in Loop: Header=BB7_658 Depth=1
	s_or_b64 exec, exec, s[14:15]
	s_waitcnt lgkmcnt(0)
	v_readfirstlane_b32 s14, v19
	v_add_u32_e32 v17, s14, v17
	v_cmp_lt_i32_e32 vcc, v17, v9
	s_and_saveexec_b64 s[14:15], vcc
	s_cbranch_execz .LBB7_655
; %bb.667:                              ;   in Loop: Header=BB7_658 Depth=1
	v_lshlrev_b32_e32 v16, 2, v17
	v_add_u32_e32 v17, s18, v16
	v_add_u32_e32 v16, v14, v16
	ds_write_b32 v17, v12
	ds_write_b32 v16, v3
	v_mov_b32_e32 v16, s18
	s_branch .LBB7_655
.LBB7_668:
	s_or_b64 exec, exec, s[6:7]
                                        ; implicit-def: $vgpr24
                                        ; implicit-def: $vgpr22
                                        ; implicit-def: $vgpr18
                                        ; implicit-def: $vgpr2
                                        ; implicit-def: $vgpr0
                                        ; implicit-def: $vgpr1
.LBB7_669:
	s_andn2_saveexec_b64 s[6:7], s[4:5]
	s_cbranch_execz .LBB7_744
; %bb.670:
	v_lshlrev_b64 v[10:11], 2, v[2:3]
	v_add_co_u32_e32 v3, vcc, v0, v10
	v_and_b32_e32 v16, 15, v3
	v_mov_b32_e32 v17, 0
	v_addc_co_u32_e32 v8, vcc, v1, v11, vcc
	v_sub_u32_e32 v12, 16, v16
	v_lshrrev_b32_e32 v12, 2, v12
	v_cmp_ne_u64_e32 vcc, 0, v[16:17]
	v_cndmask_b32_e32 v12, 0, v12, vcc
	v_min_i32_e32 v14, v12, v24
	v_sub_u32_e32 v12, v24, v14
	v_ashrrev_i32_e32 v13, 31, v12
	v_lshrrev_b32_e32 v13, 30, v13
	v_add_u32_e32 v12, v12, v13
	v_ashrrev_i32_e32 v16, 2, v12
	s_mov_b64 s[8:9], 0
	v_ashrrev_i32_e32 v15, 31, v14
	v_cmp_gt_i32_e32 vcc, v16, v20
	s_and_saveexec_b64 s[10:11], vcc
	s_cbranch_execz .LBB7_721
; %bb.671:
	s_ashr_i32 s51, s50, 31
	s_lshl_b64 s[4:5], s[50:51], 2
	s_getpc_b64 s[12:13]
	s_add_u32 s12, s12, llvm.amdgcn.dynlds.offset.table@rel32@lo+4
	s_addc_u32 s13, s13, llvm.amdgcn.dynlds.offset.table@rel32@hi+12
	s_add_u32 s4, s4, s12
	s_waitcnt lgkmcnt(0)
	v_lshlrev_b32_e32 v12, 2, v18
	s_addc_u32 s5, s5, s13
	v_add_u32_e32 v23, 0x8120, v12
	v_lshlrev_b32_e32 v26, 4, v20
	v_lshlrev_b64 v[12:13], 2, v[14:15]
	s_load_dword s18, s[4:5], 0x0
	v_add_co_u32_e32 v12, vcc, v26, v12
	v_addc_co_u32_e32 v13, vcc, 0, v13, vcc
	v_add_co_u32_e32 v10, vcc, v12, v10
	v_addc_co_u32_e32 v11, vcc, v13, v11, vcc
	v_add_co_u32_e32 v0, vcc, v0, v10
	v_add3_u32 v19, v2, v14, v21
	s_waitcnt lgkmcnt(0)
	v_lshl_add_u32 v25, v9, 2, s18
	v_addc_co_u32_e32 v1, vcc, v1, v11, vcc
	v_mov_b32_e32 v15, s18
	s_movk_i32 s19, 0x400
	v_mov_b32_e32 v26, v20
	s_branch .LBB7_675
.LBB7_672:                              ;   in Loop: Header=BB7_675 Depth=1
	s_or_b64 exec, exec, s[14:15]
.LBB7_673:                              ;   in Loop: Header=BB7_675 Depth=1
	s_or_b64 exec, exec, s[12:13]
.LBB7_674:                              ;   in Loop: Header=BB7_675 Depth=1
	s_or_b64 exec, exec, s[4:5]
	v_add_u32_e32 v26, 0x200, v26
	v_add_co_u32_e32 v0, vcc, 0x2000, v0
	v_cmp_ge_i32_e64 s[4:5], v26, v16
	v_add_u32_e32 v19, 0x800, v19
	s_or_b64 s[8:9], s[4:5], s[8:9]
	v_addc_co_u32_e32 v1, vcc, 0, v1, vcc
	s_andn2_b64 exec, exec, s[8:9]
	s_cbranch_execz .LBB7_721
.LBB7_675:                              ; =>This Inner Loop Header: Depth=1
	flat_load_dwordx4 v[10:13], v[0:1]
	s_waitcnt vmcnt(0) lgkmcnt(0)
	v_not_b32_e32 v27, v10
	v_and_b32_e32 v28, 0x7ffffc00, v27
	v_cmp_gt_i32_e32 vcc, 0, v10
	v_cndmask_b32_e32 v28, v28, v10, vcc
	v_xor_b32_e32 v28, v28, v22
	v_cmp_gt_u32_e32 vcc, s19, v28
	s_and_saveexec_b64 s[4:5], vcc
	s_cbranch_execz .LBB7_687
; %bb.676:                              ;   in Loop: Header=BB7_675 Depth=1
	v_ashrrev_i32_e32 v27, 31, v27
	v_xor_b32_e32 v27, v27, v10
	v_and_b32_e32 v27, 0x3ff, v27
	v_cmp_lt_u32_e32 vcc, v27, v18
	s_and_saveexec_b64 s[12:13], vcc
	s_cbranch_execz .LBB7_680
; %bb.677:                              ;   in Loop: Header=BB7_675 Depth=1
	s_mov_b64 s[16:17], exec
	v_mbcnt_lo_u32_b32 v28, s16, 0
	v_mbcnt_hi_u32_b32 v28, s17, v28
	v_cmp_eq_u32_e32 vcc, 0, v28
                                        ; implicit-def: $vgpr29
	s_and_saveexec_b64 s[14:15], vcc
	s_cbranch_execz .LBB7_679
; %bb.678:                              ;   in Loop: Header=BB7_675 Depth=1
	s_bcnt1_i32_b64 s16, s[16:17]
	v_mov_b32_e32 v29, s16
	ds_add_rtn_u32 v29, v17, v29 offset:49448
.LBB7_679:                              ;   in Loop: Header=BB7_675 Depth=1
	s_or_b64 exec, exec, s[14:15]
	s_waitcnt lgkmcnt(0)
	v_readfirstlane_b32 s14, v29
	v_add_lshl_u32 v28, s14, v28, 2
	v_add_u32_e32 v29, v15, v28
	v_add_u32_e32 v28, v25, v28
	ds_write_b32 v29, v19
	ds_write_b32 v28, v10
.LBB7_680:                              ;   in Loop: Header=BB7_675 Depth=1
	s_or_b64 exec, exec, s[12:13]
	v_cmp_eq_u32_e32 vcc, v27, v18
	s_and_saveexec_b64 s[12:13], vcc
	s_cbranch_execz .LBB7_686
; %bb.681:                              ;   in Loop: Header=BB7_675 Depth=1
	s_mov_b64 s[16:17], exec
	v_mbcnt_lo_u32_b32 v27, s16, 0
	v_mbcnt_hi_u32_b32 v27, s17, v27
	v_cmp_eq_u32_e32 vcc, 0, v27
                                        ; implicit-def: $vgpr28
	s_and_saveexec_b64 s[14:15], vcc
	s_cbranch_execz .LBB7_683
; %bb.682:                              ;   in Loop: Header=BB7_675 Depth=1
	s_bcnt1_i32_b64 s16, s[16:17]
	v_mov_b32_e32 v28, s16
	ds_add_rtn_u32 v28, v23, v28 offset:2112
.LBB7_683:                              ;   in Loop: Header=BB7_675 Depth=1
	s_or_b64 exec, exec, s[14:15]
	s_waitcnt lgkmcnt(0)
	v_readfirstlane_b32 s14, v28
	v_add_u32_e32 v27, s14, v27
	v_cmp_lt_i32_e32 vcc, v27, v9
	s_and_saveexec_b64 s[14:15], vcc
	s_cbranch_execz .LBB7_685
; %bb.684:                              ;   in Loop: Header=BB7_675 Depth=1
	v_lshlrev_b32_e32 v27, 2, v27
	v_add_u32_e32 v28, v15, v27
	v_add_u32_e32 v27, v25, v27
	ds_write_b32 v28, v19
	ds_write_b32 v27, v10
.LBB7_685:                              ;   in Loop: Header=BB7_675 Depth=1
	s_or_b64 exec, exec, s[14:15]
.LBB7_686:                              ;   in Loop: Header=BB7_675 Depth=1
	s_or_b64 exec, exec, s[12:13]
.LBB7_687:                              ;   in Loop: Header=BB7_675 Depth=1
	s_or_b64 exec, exec, s[4:5]
	v_not_b32_e32 v10, v11
	v_and_b32_e32 v27, 0x7ffffc00, v10
	v_cmp_gt_i32_e32 vcc, 0, v11
	v_cndmask_b32_e32 v27, v27, v11, vcc
	v_xor_b32_e32 v27, v27, v22
	v_cmp_gt_u32_e32 vcc, s19, v27
	s_and_saveexec_b64 s[4:5], vcc
	s_cbranch_execz .LBB7_699
; %bb.688:                              ;   in Loop: Header=BB7_675 Depth=1
	v_ashrrev_i32_e32 v10, 31, v10
	v_xor_b32_e32 v10, v10, v11
	v_and_b32_e32 v10, 0x3ff, v10
	v_cmp_lt_u32_e32 vcc, v10, v18
	s_and_saveexec_b64 s[12:13], vcc
	s_cbranch_execz .LBB7_692
; %bb.689:                              ;   in Loop: Header=BB7_675 Depth=1
	s_mov_b64 s[16:17], exec
	v_mbcnt_lo_u32_b32 v27, s16, 0
	v_mbcnt_hi_u32_b32 v27, s17, v27
	v_cmp_eq_u32_e32 vcc, 0, v27
                                        ; implicit-def: $vgpr28
	s_and_saveexec_b64 s[14:15], vcc
	s_cbranch_execz .LBB7_691
; %bb.690:                              ;   in Loop: Header=BB7_675 Depth=1
	s_bcnt1_i32_b64 s16, s[16:17]
	v_mov_b32_e32 v28, s16
	ds_add_rtn_u32 v28, v17, v28 offset:49448
.LBB7_691:                              ;   in Loop: Header=BB7_675 Depth=1
	s_or_b64 exec, exec, s[14:15]
	s_waitcnt lgkmcnt(0)
	v_readfirstlane_b32 s14, v28
	v_add_lshl_u32 v27, s14, v27, 2
	v_add_u32_e32 v28, 1, v19
	v_add_u32_e32 v29, v15, v27
	;; [unrolled: 1-line block ×3, first 2 shown]
	ds_write_b32 v29, v28
	ds_write_b32 v27, v11
.LBB7_692:                              ;   in Loop: Header=BB7_675 Depth=1
	s_or_b64 exec, exec, s[12:13]
	v_cmp_eq_u32_e32 vcc, v10, v18
	s_and_saveexec_b64 s[12:13], vcc
	s_cbranch_execz .LBB7_698
; %bb.693:                              ;   in Loop: Header=BB7_675 Depth=1
	s_mov_b64 s[16:17], exec
	v_mbcnt_lo_u32_b32 v10, s16, 0
	v_mbcnt_hi_u32_b32 v10, s17, v10
	v_cmp_eq_u32_e32 vcc, 0, v10
                                        ; implicit-def: $vgpr27
	s_and_saveexec_b64 s[14:15], vcc
	s_cbranch_execz .LBB7_695
; %bb.694:                              ;   in Loop: Header=BB7_675 Depth=1
	s_bcnt1_i32_b64 s16, s[16:17]
	v_mov_b32_e32 v27, s16
	ds_add_rtn_u32 v27, v23, v27 offset:2112
.LBB7_695:                              ;   in Loop: Header=BB7_675 Depth=1
	s_or_b64 exec, exec, s[14:15]
	s_waitcnt lgkmcnt(0)
	v_readfirstlane_b32 s14, v27
	v_add_u32_e32 v10, s14, v10
	v_cmp_lt_i32_e32 vcc, v10, v9
	s_and_saveexec_b64 s[14:15], vcc
	s_cbranch_execz .LBB7_697
; %bb.696:                              ;   in Loop: Header=BB7_675 Depth=1
	v_lshlrev_b32_e32 v10, 2, v10
	v_add_u32_e32 v27, 1, v19
	v_add_u32_e32 v28, v15, v10
	;; [unrolled: 1-line block ×3, first 2 shown]
	ds_write_b32 v28, v27
	ds_write_b32 v10, v11
.LBB7_697:                              ;   in Loop: Header=BB7_675 Depth=1
	s_or_b64 exec, exec, s[14:15]
.LBB7_698:                              ;   in Loop: Header=BB7_675 Depth=1
	s_or_b64 exec, exec, s[12:13]
.LBB7_699:                              ;   in Loop: Header=BB7_675 Depth=1
	s_or_b64 exec, exec, s[4:5]
	v_not_b32_e32 v10, v12
	v_and_b32_e32 v11, 0x7ffffc00, v10
	v_cmp_gt_i32_e32 vcc, 0, v12
	v_cndmask_b32_e32 v11, v11, v12, vcc
	v_xor_b32_e32 v11, v11, v22
	v_cmp_gt_u32_e32 vcc, s19, v11
	s_and_saveexec_b64 s[4:5], vcc
	s_cbranch_execz .LBB7_711
; %bb.700:                              ;   in Loop: Header=BB7_675 Depth=1
	v_ashrrev_i32_e32 v10, 31, v10
	v_xor_b32_e32 v10, v10, v12
	v_and_b32_e32 v10, 0x3ff, v10
	v_cmp_lt_u32_e32 vcc, v10, v18
	s_and_saveexec_b64 s[12:13], vcc
	s_cbranch_execz .LBB7_704
; %bb.701:                              ;   in Loop: Header=BB7_675 Depth=1
	s_mov_b64 s[16:17], exec
	v_mbcnt_lo_u32_b32 v11, s16, 0
	v_mbcnt_hi_u32_b32 v11, s17, v11
	v_cmp_eq_u32_e32 vcc, 0, v11
                                        ; implicit-def: $vgpr27
	s_and_saveexec_b64 s[14:15], vcc
	s_cbranch_execz .LBB7_703
; %bb.702:                              ;   in Loop: Header=BB7_675 Depth=1
	s_bcnt1_i32_b64 s16, s[16:17]
	v_mov_b32_e32 v27, s16
	ds_add_rtn_u32 v27, v17, v27 offset:49448
.LBB7_703:                              ;   in Loop: Header=BB7_675 Depth=1
	s_or_b64 exec, exec, s[14:15]
	s_waitcnt lgkmcnt(0)
	v_readfirstlane_b32 s14, v27
	v_add_lshl_u32 v11, s14, v11, 2
	v_add_u32_e32 v27, 2, v19
	v_add_u32_e32 v28, v15, v11
	;; [unrolled: 1-line block ×3, first 2 shown]
	ds_write_b32 v28, v27
	ds_write_b32 v11, v12
.LBB7_704:                              ;   in Loop: Header=BB7_675 Depth=1
	s_or_b64 exec, exec, s[12:13]
	v_cmp_eq_u32_e32 vcc, v10, v18
	s_and_saveexec_b64 s[12:13], vcc
	s_cbranch_execz .LBB7_710
; %bb.705:                              ;   in Loop: Header=BB7_675 Depth=1
	s_mov_b64 s[16:17], exec
	v_mbcnt_lo_u32_b32 v10, s16, 0
	v_mbcnt_hi_u32_b32 v10, s17, v10
	v_cmp_eq_u32_e32 vcc, 0, v10
                                        ; implicit-def: $vgpr11
	s_and_saveexec_b64 s[14:15], vcc
	s_cbranch_execz .LBB7_707
; %bb.706:                              ;   in Loop: Header=BB7_675 Depth=1
	s_bcnt1_i32_b64 s16, s[16:17]
	v_mov_b32_e32 v11, s16
	ds_add_rtn_u32 v11, v23, v11 offset:2112
.LBB7_707:                              ;   in Loop: Header=BB7_675 Depth=1
	s_or_b64 exec, exec, s[14:15]
	s_waitcnt lgkmcnt(0)
	v_readfirstlane_b32 s14, v11
	v_add_u32_e32 v10, s14, v10
	v_cmp_lt_i32_e32 vcc, v10, v9
	s_and_saveexec_b64 s[14:15], vcc
	s_cbranch_execz .LBB7_709
; %bb.708:                              ;   in Loop: Header=BB7_675 Depth=1
	v_lshlrev_b32_e32 v10, 2, v10
	v_add_u32_e32 v11, 2, v19
	v_add_u32_e32 v27, v15, v10
	;; [unrolled: 1-line block ×3, first 2 shown]
	ds_write_b32 v27, v11
	ds_write_b32 v10, v12
.LBB7_709:                              ;   in Loop: Header=BB7_675 Depth=1
	s_or_b64 exec, exec, s[14:15]
.LBB7_710:                              ;   in Loop: Header=BB7_675 Depth=1
	s_or_b64 exec, exec, s[12:13]
.LBB7_711:                              ;   in Loop: Header=BB7_675 Depth=1
	s_or_b64 exec, exec, s[4:5]
	v_not_b32_e32 v10, v13
	v_and_b32_e32 v11, 0x7ffffc00, v10
	v_cmp_gt_i32_e32 vcc, 0, v13
	v_cndmask_b32_e32 v11, v11, v13, vcc
	v_xor_b32_e32 v11, v11, v22
	v_cmp_gt_u32_e32 vcc, s19, v11
	s_and_saveexec_b64 s[4:5], vcc
	s_cbranch_execz .LBB7_674
; %bb.712:                              ;   in Loop: Header=BB7_675 Depth=1
	v_ashrrev_i32_e32 v10, 31, v10
	v_xor_b32_e32 v10, v10, v13
	v_and_b32_e32 v10, 0x3ff, v10
	v_cmp_lt_u32_e32 vcc, v10, v18
	s_and_saveexec_b64 s[12:13], vcc
	s_cbranch_execz .LBB7_716
; %bb.713:                              ;   in Loop: Header=BB7_675 Depth=1
	s_mov_b64 s[16:17], exec
	v_mbcnt_lo_u32_b32 v11, s16, 0
	v_mbcnt_hi_u32_b32 v11, s17, v11
	v_cmp_eq_u32_e32 vcc, 0, v11
                                        ; implicit-def: $vgpr12
	s_and_saveexec_b64 s[14:15], vcc
	s_cbranch_execz .LBB7_715
; %bb.714:                              ;   in Loop: Header=BB7_675 Depth=1
	s_bcnt1_i32_b64 s16, s[16:17]
	v_mov_b32_e32 v12, s16
	ds_add_rtn_u32 v12, v17, v12 offset:49448
.LBB7_715:                              ;   in Loop: Header=BB7_675 Depth=1
	s_or_b64 exec, exec, s[14:15]
	s_waitcnt lgkmcnt(0)
	v_readfirstlane_b32 s14, v12
	v_add_lshl_u32 v11, s14, v11, 2
	v_add_u32_e32 v12, 3, v19
	v_add_u32_e32 v27, v15, v11
	;; [unrolled: 1-line block ×3, first 2 shown]
	ds_write_b32 v27, v12
	ds_write_b32 v11, v13
.LBB7_716:                              ;   in Loop: Header=BB7_675 Depth=1
	s_or_b64 exec, exec, s[12:13]
	v_cmp_eq_u32_e32 vcc, v10, v18
	s_and_saveexec_b64 s[12:13], vcc
	s_cbranch_execz .LBB7_673
; %bb.717:                              ;   in Loop: Header=BB7_675 Depth=1
	s_mov_b64 s[16:17], exec
	v_mbcnt_lo_u32_b32 v10, s16, 0
	v_mbcnt_hi_u32_b32 v10, s17, v10
	v_cmp_eq_u32_e32 vcc, 0, v10
                                        ; implicit-def: $vgpr11
	s_and_saveexec_b64 s[14:15], vcc
	s_cbranch_execz .LBB7_719
; %bb.718:                              ;   in Loop: Header=BB7_675 Depth=1
	s_bcnt1_i32_b64 s16, s[16:17]
	v_mov_b32_e32 v11, s16
	ds_add_rtn_u32 v11, v23, v11 offset:2112
.LBB7_719:                              ;   in Loop: Header=BB7_675 Depth=1
	s_or_b64 exec, exec, s[14:15]
	s_waitcnt lgkmcnt(0)
	v_readfirstlane_b32 s14, v11
	v_add_u32_e32 v10, s14, v10
	v_cmp_lt_i32_e32 vcc, v10, v9
	s_and_saveexec_b64 s[14:15], vcc
	s_cbranch_execz .LBB7_672
; %bb.720:                              ;   in Loop: Header=BB7_675 Depth=1
	v_lshlrev_b32_e32 v10, 2, v10
	v_add_u32_e32 v11, 3, v19
	v_add_u32_e32 v12, s18, v10
	v_mov_b32_e32 v15, s18
	v_add_u32_e32 v10, v25, v10
	ds_write_b32 v12, v11
	ds_write_b32 v10, v13
	s_branch .LBB7_672
.LBB7_721:
	s_or_b64 exec, exec, s[10:11]
	v_cmp_gt_u32_e32 vcc, v14, v20
	s_and_saveexec_b64 s[4:5], vcc
	s_cbranch_execz .LBB7_732
; %bb.722:
	v_add_co_u32_e32 v0, vcc, v3, v21
	v_addc_co_u32_e32 v1, vcc, 0, v8, vcc
	flat_load_dword v0, v[0:1]
	s_movk_i32 s8, 0x400
	s_waitcnt vmcnt(0) lgkmcnt(0)
	v_not_b32_e32 v1, v0
	v_and_b32_e32 v10, 0x7ffffc00, v1
	v_cmp_gt_i32_e32 vcc, 0, v0
	v_cndmask_b32_e32 v10, v10, v0, vcc
	v_xor_b32_e32 v10, v10, v22
	v_cmp_gt_u32_e32 vcc, s8, v10
	s_and_b64 exec, exec, vcc
	s_cbranch_execz .LBB7_732
; %bb.723:
	v_ashrrev_i32_e32 v1, 31, v1
	v_xor_b32_e32 v1, v1, v0
	v_and_b32_e32 v1, 0x3ff, v1
	v_cmp_lt_u32_e32 vcc, v1, v18
	s_and_saveexec_b64 s[8:9], vcc
	s_cbranch_execz .LBB7_727
; %bb.724:
	s_mov_b64 s[12:13], exec
	v_mbcnt_lo_u32_b32 v10, s12, 0
	v_mbcnt_hi_u32_b32 v10, s13, v10
	v_cmp_eq_u32_e32 vcc, 0, v10
                                        ; implicit-def: $vgpr11
	s_and_saveexec_b64 s[10:11], vcc
	s_cbranch_execz .LBB7_726
; %bb.725:
	s_bcnt1_i32_b64 s12, s[12:13]
	v_mov_b32_e32 v11, 0
	v_mov_b32_e32 v12, s12
	ds_add_rtn_u32 v11, v11, v12 offset:49448
.LBB7_726:
	s_or_b64 exec, exec, s[10:11]
	s_ashr_i32 s51, s50, 31
	s_lshl_b64 s[10:11], s[50:51], 2
	s_getpc_b64 s[12:13]
	s_add_u32 s12, s12, llvm.amdgcn.dynlds.offset.table@rel32@lo+4
	s_addc_u32 s13, s13, llvm.amdgcn.dynlds.offset.table@rel32@hi+12
	s_add_u32 s10, s10, s12
	s_addc_u32 s11, s11, s13
	s_load_dword s10, s[10:11], 0x0
	s_waitcnt lgkmcnt(0)
	v_readfirstlane_b32 s11, v11
	v_add_u32_e32 v10, s11, v10
	v_add_u32_e32 v11, v20, v2
	v_lshl_add_u32 v10, v10, 2, s10
	ds_write_b32 v10, v11
	v_lshl_add_u32 v10, v9, 2, v10
	ds_write_b32 v10, v0
.LBB7_727:
	s_or_b64 exec, exec, s[8:9]
	v_cmp_eq_u32_e32 vcc, v1, v18
	s_and_b64 exec, exec, vcc
	s_cbranch_execz .LBB7_732
; %bb.728:
	s_mov_b64 s[10:11], exec
	v_mbcnt_lo_u32_b32 v1, s10, 0
	v_mbcnt_hi_u32_b32 v1, s11, v1
	v_cmp_eq_u32_e32 vcc, 0, v1
                                        ; implicit-def: $vgpr10
	s_and_saveexec_b64 s[8:9], vcc
	s_cbranch_execz .LBB7_730
; %bb.729:
	s_bcnt1_i32_b64 s10, s[10:11]
	v_lshlrev_b32_e32 v10, 2, v18
	v_mov_b32_e32 v11, s10
	ds_add_rtn_u32 v10, v10, v11 offset:35168
.LBB7_730:
	s_or_b64 exec, exec, s[8:9]
	s_waitcnt lgkmcnt(0)
	v_readfirstlane_b32 s8, v10
	v_add_u32_e32 v1, s8, v1
	v_cmp_lt_i32_e32 vcc, v1, v9
	s_and_b64 exec, exec, vcc
	s_cbranch_execz .LBB7_732
; %bb.731:
	s_ashr_i32 s51, s50, 31
	s_lshl_b64 s[8:9], s[50:51], 2
	s_getpc_b64 s[10:11]
	s_add_u32 s10, s10, llvm.amdgcn.dynlds.offset.table@rel32@lo+4
	s_addc_u32 s11, s11, llvm.amdgcn.dynlds.offset.table@rel32@hi+12
	s_add_u32 s8, s8, s10
	s_addc_u32 s9, s9, s11
	s_load_dword s8, s[8:9], 0x0
	v_add_u32_e32 v10, v20, v2
	s_waitcnt lgkmcnt(0)
	v_lshl_add_u32 v1, v1, 2, s8
	v_lshl_add_u32 v11, v9, 2, v1
	ds_write_b32 v1, v10
	ds_write_b32 v11, v0
.LBB7_732:
	s_or_b64 exec, exec, s[4:5]
	v_lshlrev_b32_e32 v0, 2, v16
	v_add3_u32 v0, v14, v20, v0
	v_cmp_lt_i32_e32 vcc, v0, v24
	s_and_saveexec_b64 s[4:5], vcc
	s_cbranch_execz .LBB7_743
; %bb.733:
	v_ashrrev_i32_e32 v1, 31, v0
	v_lshlrev_b64 v[10:11], 2, v[0:1]
	v_add_co_u32_e32 v10, vcc, v3, v10
	v_addc_co_u32_e32 v11, vcc, v8, v11, vcc
	flat_load_dword v1, v[10:11]
	s_movk_i32 s8, 0x400
	s_waitcnt vmcnt(0) lgkmcnt(0)
	v_not_b32_e32 v3, v1
	v_and_b32_e32 v8, 0x7ffffc00, v3
	v_cmp_gt_i32_e32 vcc, 0, v1
	v_cndmask_b32_e32 v8, v8, v1, vcc
	v_xor_b32_e32 v8, v8, v22
	v_cmp_gt_u32_e32 vcc, s8, v8
	s_and_b64 exec, exec, vcc
	s_cbranch_execz .LBB7_743
; %bb.734:
	v_ashrrev_i32_e32 v3, 31, v3
	v_xor_b32_e32 v3, v3, v1
	v_and_b32_e32 v3, 0x3ff, v3
	v_cmp_lt_u32_e32 vcc, v3, v18
	s_and_saveexec_b64 s[8:9], vcc
	s_cbranch_execz .LBB7_738
; %bb.735:
	s_mov_b64 s[12:13], exec
	v_mbcnt_lo_u32_b32 v8, s12, 0
	v_mbcnt_hi_u32_b32 v8, s13, v8
	v_cmp_eq_u32_e32 vcc, 0, v8
                                        ; implicit-def: $vgpr10
	s_and_saveexec_b64 s[10:11], vcc
	s_cbranch_execz .LBB7_737
; %bb.736:
	s_bcnt1_i32_b64 s12, s[12:13]
	v_mov_b32_e32 v10, 0
	v_mov_b32_e32 v11, s12
	ds_add_rtn_u32 v10, v10, v11 offset:49448
.LBB7_737:
	s_or_b64 exec, exec, s[10:11]
	s_ashr_i32 s51, s50, 31
	s_lshl_b64 s[10:11], s[50:51], 2
	s_getpc_b64 s[12:13]
	s_add_u32 s12, s12, llvm.amdgcn.dynlds.offset.table@rel32@lo+4
	s_addc_u32 s13, s13, llvm.amdgcn.dynlds.offset.table@rel32@hi+12
	s_add_u32 s10, s10, s12
	s_addc_u32 s11, s11, s13
	s_load_dword s10, s[10:11], 0x0
	s_waitcnt lgkmcnt(0)
	v_readfirstlane_b32 s11, v10
	v_add_u32_e32 v8, s11, v8
	v_add_u32_e32 v10, v0, v2
	v_lshl_add_u32 v8, v8, 2, s10
	ds_write_b32 v8, v10
	v_lshl_add_u32 v8, v9, 2, v8
	ds_write_b32 v8, v1
.LBB7_738:
	s_or_b64 exec, exec, s[8:9]
	v_cmp_eq_u32_e32 vcc, v3, v18
	s_and_b64 exec, exec, vcc
	s_cbranch_execz .LBB7_743
; %bb.739:
	s_mov_b64 s[10:11], exec
	v_mbcnt_lo_u32_b32 v3, s10, 0
	v_mbcnt_hi_u32_b32 v3, s11, v3
	v_cmp_eq_u32_e32 vcc, 0, v3
                                        ; implicit-def: $vgpr8
	s_and_saveexec_b64 s[8:9], vcc
	s_cbranch_execz .LBB7_741
; %bb.740:
	s_bcnt1_i32_b64 s10, s[10:11]
	v_lshlrev_b32_e32 v8, 2, v18
	v_mov_b32_e32 v10, s10
	ds_add_rtn_u32 v8, v8, v10 offset:35168
.LBB7_741:
	s_or_b64 exec, exec, s[8:9]
	s_waitcnt lgkmcnt(0)
	v_readfirstlane_b32 s8, v8
	v_add_u32_e32 v3, s8, v3
	v_cmp_lt_i32_e32 vcc, v3, v9
	s_and_b64 exec, exec, vcc
	s_cbranch_execz .LBB7_743
; %bb.742:
	s_ashr_i32 s51, s50, 31
	s_lshl_b64 s[8:9], s[50:51], 2
	s_getpc_b64 s[10:11]
	s_add_u32 s10, s10, llvm.amdgcn.dynlds.offset.table@rel32@lo+4
	s_addc_u32 s11, s11, llvm.amdgcn.dynlds.offset.table@rel32@hi+12
	s_add_u32 s8, s8, s10
	s_addc_u32 s9, s9, s11
	s_load_dword s8, s[8:9], 0x0
	v_add_u32_e32 v0, v0, v2
	s_waitcnt lgkmcnt(0)
	v_lshl_add_u32 v2, v3, 2, s8
	v_lshl_add_u32 v3, v9, 2, v2
	ds_write_b32 v2, v0
	ds_write_b32 v3, v1
.LBB7_743:
	s_or_b64 exec, exec, s[4:5]
.LBB7_744:
	s_or_b64 exec, exec, s[6:7]
	s_waitcnt lgkmcnt(0)
	s_barrier
	v_cmp_lt_i32_e32 vcc, v20, v9
	s_and_saveexec_b64 s[4:5], vcc
	s_cbranch_execz .LBB7_747
.LBB7_745:
	s_ashr_i32 s51, s50, 31
	s_lshl_b64 s[6:7], s[50:51], 2
	s_getpc_b64 s[8:9]
	s_add_u32 s8, s8, llvm.amdgcn.dynlds.offset.table@rel32@lo+4
	s_addc_u32 s9, s9, llvm.amdgcn.dynlds.offset.table@rel32@hi+12
	s_add_u32 s6, s6, s8
	s_addc_u32 s7, s7, s9
	s_load_dword s6, s[6:7], 0x0
	v_add_co_u32_e32 v0, vcc, v4, v21
	v_addc_co_u32_e32 v1, vcc, 0, v5, vcc
	v_add_co_u32_e32 v2, vcc, v6, v21
	v_addc_co_u32_e32 v3, vcc, 0, v7, vcc
	s_waitcnt lgkmcnt(0)
	v_add_u32_e32 v4, s6, v21
	v_lshlrev_b32_e32 v5, 2, v9
	s_mov_b64 s[6:7], 0
.LBB7_746:                              ; =>This Inner Loop Header: Depth=1
	v_add_u32_e32 v6, v4, v5
	ds_read_b32 v7, v4
	ds_read_b32 v6, v6
	v_add_u32_e32 v20, 0x200, v20
	v_cmp_ge_i32_e32 vcc, v20, v9
	s_or_b64 s[6:7], vcc, s[6:7]
	s_waitcnt lgkmcnt(0)
	flat_store_dword v[0:1], v7
	v_add_co_u32_e32 v0, vcc, 0x800, v0
	v_addc_co_u32_e32 v1, vcc, 0, v1, vcc
	s_waitcnt lgkmcnt(0)
	flat_store_dword v[2:3], v6
	v_add_co_u32_e32 v2, vcc, 0x800, v2
	v_add_u32_e32 v4, 0x800, v4
	v_addc_co_u32_e32 v3, vcc, 0, v3, vcc
	s_andn2_b64 exec, exec, s[6:7]
	s_cbranch_execnz .LBB7_746
.LBB7_747:
	s_or_b64 exec, exec, s[4:5]
.LBB7_748:
	s_or_b64 exec, exec, s[52:53]
	v_readlane_b32 s30, v40, 23
	v_readlane_b32 s31, v40, 24
	;; [unrolled: 1-line block ×25, first 2 shown]
	s_or_saveexec_b64 s[4:5], -1
	buffer_load_dword v40, off, s[0:3], s32 ; 4-byte Folded Reload
	s_mov_b64 exec, s[4:5]
	s_waitcnt vmcnt(0) lgkmcnt(0)
	s_setpc_b64 s[30:31]
.Lfunc_end7:
	.size	_ZN4vllmL13topKPerRowJobILi512ELi2048ELb1ELb1ELb0EEEvPKiPKfiiPiPfii, .Lfunc_end7-_ZN4vllmL13topKPerRowJobILi512ELi2048ELb1ELb1ELb0EEEvPKiPKfiiPiPfii
                                        ; -- End function
	.section	.AMDGPU.csdata,"",@progbits
; Function info:
; codeLenInByte = 33332
; NumSgprs: 61
; NumVgprs: 72
; NumAgprs: 0
; TotalNumVgprs: 72
; ScratchSize: 8
; MemoryBound: 0
	.section	.text._ZN4vllmL16topKPerRowDecodeILi512ELb1ELb1ELb0EEEvPKfPKiPiiiiiiPfiS4_,"axG",@progbits,_ZN4vllmL16topKPerRowDecodeILi512ELb1ELb1ELb0EEEvPKfPKiPiiiiiiPfiS4_,comdat
	.globl	_ZN4vllmL16topKPerRowDecodeILi512ELb1ELb1ELb0EEEvPKfPKiPiiiiiiPfiS4_ ; -- Begin function _ZN4vllmL16topKPerRowDecodeILi512ELb1ELb1ELb0EEEvPKfPKiPiiiiiiPfiS4_
	.p2align	8
	.type	_ZN4vllmL16topKPerRowDecodeILi512ELb1ELb1ELb0EEEvPKfPKiPiiiiiiPfiS4_,@function
_ZN4vllmL16topKPerRowDecodeILi512ELb1ELb1ELb0EEEvPKfPKiPiiiiiiPfiS4_: ; @_ZN4vllmL16topKPerRowDecodeILi512ELb1ELb1ELb0EEEvPKfPKiPiiiiiiPfiS4_
; %bb.0:
	s_mov_b32 s12, s8
	s_load_dwordx4 s[16:19], s[4:5], 0x18
	s_load_dword s8, s[4:5], 0x28
	s_add_u32 flat_scratch_lo, s6, s11
	s_addc_u32 flat_scratch_hi, s7, 0
	s_add_u32 s0, s0, s11
	s_addc_u32 s1, s1, 0
	s_mov_b32 s13, s9
	s_waitcnt lgkmcnt(0)
	s_abs_i32 s9, s19
	v_cvt_f32_u32_e32 v1, s9
	s_sub_i32 s15, 0, s9
	s_abs_i32 s11, s12
	s_xor_b32 s14, s12, s19
	v_rcp_iflag_f32_e32 v1, v1
	s_ashr_i32 s14, s14, 31
	s_load_dwordx4 s[20:23], s[4:5], 0x0
	s_load_dwordx2 s[6:7], s[4:5], 0x10
	s_mov_b32 s32, 0
	v_mul_f32_e32 v1, 0x4f7ffffe, v1
	v_cvt_u32_f32_e32 v1, v1
	v_readfirstlane_b32 s24, v1
	s_mul_i32 s15, s15, s24
	s_mul_hi_u32 s15, s24, s15
	s_add_i32 s24, s24, s15
	s_mul_hi_u32 s15, s11, s24
	s_mul_i32 s24, s15, s9
	s_sub_i32 s11, s11, s24
	s_add_i32 s25, s15, 1
	s_sub_i32 s24, s11, s9
	s_cmp_ge_u32 s11, s9
	s_cselect_b32 s15, s25, s15
	s_cselect_b32 s11, s24, s11
	s_add_i32 s24, s15, 1
	s_cmp_ge_u32 s11, s9
	s_cselect_b32 s9, s24, s15
	s_xor_b32 s9, s9, s14
	s_sub_i32 s14, s9, s14
	s_cmp_eq_u32 s8, 0
	s_cselect_b64 s[8:9], -1, 0
	s_and_b64 vcc, s[8:9], exec
	s_cselect_b32 s8, s14, s12
	s_ashr_i32 s9, s8, 31
	s_lshl_b64 s[8:9], s[8:9], 2
	s_waitcnt lgkmcnt(0)
	s_add_u32 s8, s22, s8
	s_addc_u32 s9, s23, s9
	s_load_dword s15, s[8:9], 0x0
	s_cbranch_vccnz .LBB8_2
; %bb.1:
	s_waitcnt lgkmcnt(0)
	s_max_i32 s11, s15, 0
	s_cbranch_execz .LBB8_3
	s_branch .LBB8_4
.LBB8_2:
                                        ; implicit-def: $sgpr11
.LBB8_3:
	s_mul_i32 s14, s14, s19
	s_sub_i32 s8, s12, s14
	s_sub_i32 s8, s8, s19
	s_waitcnt lgkmcnt(0)
	s_add_i32 s8, s8, s15
	s_max_i32 s8, s8, -1
	s_add_i32 s11, s8, 1
.LBB8_4:
	s_load_dword s19, s[4:5], 0x4c
	s_load_dwordx2 s[8:9], s[4:5], 0x30
	s_mul_i32 s22, s18, s12
	s_mul_hi_i32 s23, s18, s12
	s_waitcnt lgkmcnt(0)
	s_mov_b32 s15, 0
	v_cvt_f32_u32_e32 v1, s19
	s_sub_i32 s24, 0, s19
	s_mul_i32 s23, s23, s19
	s_mul_hi_u32 s25, s22, s19
	v_rcp_iflag_f32_e32 v1, v1
	s_mul_i32 s22, s22, s19
	s_mul_i32 s14, s13, s18
	v_mov_b32_e32 v31, v0
	v_mul_f32_e32 v1, 0x4f7ffffe, v1
	v_cvt_u32_f32_e32 v1, v1
	v_mov_b32_e32 v8, s17
	v_mov_b32_e32 v9, s18
	v_readfirstlane_b32 s26, v1
	s_mul_i32 s24, s24, s26
	s_mul_hi_u32 s24, s26, s24
	s_add_i32 s26, s26, s24
	s_mul_hi_u32 s24, s11, s26
	s_mul_i32 s26, s24, s19
	s_sub_i32 s26, s11, s26
	s_add_i32 s27, s24, 1
	s_sub_i32 s28, s26, s19
	s_cmp_ge_u32 s26, s19
	s_cselect_b32 s24, s27, s24
	s_cselect_b32 s26, s28, s26
	s_add_i32 s27, s24, 1
	s_cmp_ge_u32 s26, s19
	s_cselect_b32 s24, s27, s24
	s_mul_i32 s27, s24, s13
	s_add_i32 s26, s13, 1
	s_add_i32 s24, s27, s24
	s_cmp_eq_u32 s19, s26
	s_cselect_b32 s11, s11, s24
	s_add_i32 s23, s25, s23
	s_lshl_b64 s[22:23], s[22:23], 2
	s_add_u32 s19, s6, s22
	s_addc_u32 s24, s7, s23
	s_lshl_b64 s[6:7], s[14:15], 2
	s_add_u32 s19, s19, s6
	s_addc_u32 s24, s24, s7
	s_add_u32 s8, s8, s22
	s_addc_u32 s9, s9, s23
	s_add_u32 s22, s8, s6
	s_addc_u32 s23, s9, s7
	s_mul_hi_i32 s7, s16, s12
	s_mul_i32 s6, s16, s12
	s_lshl_b64 s[6:7], s[6:7], 2
	s_add_u32 s6, s20, s6
	s_addc_u32 s7, s21, s7
	s_add_u32 s8, s4, 0x48
	s_addc_u32 s9, s5, 0
	s_mov_b32 s14, s10
	s_mov_b32 s15, 2
	v_mov_b32_e32 v0, s6
	v_mov_b32_e32 v1, s7
	;; [unrolled: 1-line block ×8, first 2 shown]
	s_getpc_b64 s[4:5]
	s_add_u32 s4, s4, _ZN4vllmL13topKPerRowJobILi512ELi2048ELb1ELb1ELb0EEEvPKiPKfiiPiPfii@rel32@lo+4
	s_addc_u32 s5, s5, _ZN4vllmL13topKPerRowJobILi512ELi2048ELb1ELb1ELb0EEEvPKiPKfiiPiPfii@rel32@hi+12
	s_swappc_b64 s[30:31], s[4:5]
	s_endpgm
	.section	.rodata,"a",@progbits
	.p2align	6, 0x0
	.amdhsa_kernel _ZN4vllmL16topKPerRowDecodeILi512ELb1ELb1ELb0EEEvPKfPKiPiiiiiiPfiS4_
		.amdhsa_group_segment_fixed_size 49456
		.amdhsa_private_segment_fixed_size 8
		.amdhsa_kernarg_size 328
		.amdhsa_user_sgpr_count 8
		.amdhsa_user_sgpr_private_segment_buffer 1
		.amdhsa_user_sgpr_dispatch_ptr 0
		.amdhsa_user_sgpr_queue_ptr 0
		.amdhsa_user_sgpr_kernarg_segment_ptr 1
		.amdhsa_user_sgpr_dispatch_id 0
		.amdhsa_user_sgpr_flat_scratch_init 1
		.amdhsa_user_sgpr_kernarg_preload_length 0
		.amdhsa_user_sgpr_kernarg_preload_offset 0
		.amdhsa_user_sgpr_private_segment_size 0
		.amdhsa_uses_dynamic_stack 0
		.amdhsa_system_sgpr_private_segment_wavefront_offset 1
		.amdhsa_system_sgpr_workgroup_id_x 1
		.amdhsa_system_sgpr_workgroup_id_y 1
		.amdhsa_system_sgpr_workgroup_id_z 1
		.amdhsa_system_sgpr_workgroup_info 0
		.amdhsa_system_vgpr_workitem_id 2
		.amdhsa_next_free_vgpr 72
		.amdhsa_next_free_sgpr 57
		.amdhsa_accum_offset 72
		.amdhsa_reserve_vcc 1
		.amdhsa_reserve_flat_scratch 1
		.amdhsa_float_round_mode_32 0
		.amdhsa_float_round_mode_16_64 0
		.amdhsa_float_denorm_mode_32 3
		.amdhsa_float_denorm_mode_16_64 3
		.amdhsa_dx10_clamp 1
		.amdhsa_ieee_mode 1
		.amdhsa_fp16_overflow 0
		.amdhsa_tg_split 0
		.amdhsa_exception_fp_ieee_invalid_op 0
		.amdhsa_exception_fp_denorm_src 0
		.amdhsa_exception_fp_ieee_div_zero 0
		.amdhsa_exception_fp_ieee_overflow 0
		.amdhsa_exception_fp_ieee_underflow 0
		.amdhsa_exception_fp_ieee_inexact 0
		.amdhsa_exception_int_div_zero 0
	.end_amdhsa_kernel
	.section	.text._ZN4vllmL16topKPerRowDecodeILi512ELb1ELb1ELb0EEEvPKfPKiPiiiiiiPfiS4_,"axG",@progbits,_ZN4vllmL16topKPerRowDecodeILi512ELb1ELb1ELb0EEEvPKfPKiPiiiiiiPfiS4_,comdat
.Lfunc_end8:
	.size	_ZN4vllmL16topKPerRowDecodeILi512ELb1ELb1ELb0EEEvPKfPKiPiiiiiiPfiS4_, .Lfunc_end8-_ZN4vllmL16topKPerRowDecodeILi512ELb1ELb1ELb0EEEvPKfPKiPiiiiiiPfiS4_
                                        ; -- End function
	.section	.AMDGPU.csdata,"",@progbits
; Kernel info:
; codeLenInByte = 572
; NumSgprs: 63
; NumVgprs: 72
; NumAgprs: 0
; TotalNumVgprs: 72
; ScratchSize: 8
; MemoryBound: 0
; FloatMode: 240
; IeeeMode: 1
; LDSByteSize: 49456 bytes/workgroup (compile time only)
; SGPRBlocks: 7
; VGPRBlocks: 8
; NumSGPRsForWavesPerEU: 63
; NumVGPRsForWavesPerEU: 72
; AccumOffset: 72
; Occupancy: 2
; WaveLimiterHint : 0
; COMPUTE_PGM_RSRC2:SCRATCH_EN: 1
; COMPUTE_PGM_RSRC2:USER_SGPR: 8
; COMPUTE_PGM_RSRC2:TRAP_HANDLER: 0
; COMPUTE_PGM_RSRC2:TGID_X_EN: 1
; COMPUTE_PGM_RSRC2:TGID_Y_EN: 1
; COMPUTE_PGM_RSRC2:TGID_Z_EN: 1
; COMPUTE_PGM_RSRC2:TIDIG_COMP_CNT: 2
; COMPUTE_PGM_RSRC3_GFX90A:ACCUM_OFFSET: 17
; COMPUTE_PGM_RSRC3_GFX90A:TG_SPLIT: 0
	.section	.text._ZN4vllmL16topKPerRowDecodeILi1024ELb1ELb0ELb1EEEvPKfPKiPiiiiiiPfiS4_,"axG",@progbits,_ZN4vllmL16topKPerRowDecodeILi1024ELb1ELb0ELb1EEEvPKfPKiPiiiiiiPfiS4_,comdat
	.globl	_ZN4vllmL16topKPerRowDecodeILi1024ELb1ELb0ELb1EEEvPKfPKiPiiiiiiPfiS4_ ; -- Begin function _ZN4vllmL16topKPerRowDecodeILi1024ELb1ELb0ELb1EEEvPKfPKiPiiiiiiPfiS4_
	.p2align	8
	.type	_ZN4vllmL16topKPerRowDecodeILi1024ELb1ELb0ELb1EEEvPKfPKiPiiiiiiPfiS4_,@function
_ZN4vllmL16topKPerRowDecodeILi1024ELb1ELb0ELb1EEEvPKfPKiPiiiiiiPfiS4_: ; @_ZN4vllmL16topKPerRowDecodeILi1024ELb1ELb0ELb1EEEvPKfPKiPiiiiiiPfiS4_
; %bb.0:
	s_load_dwordx4 s[40:43], s[4:5], 0x18
	s_load_dword s7, s[4:5], 0x38
	s_load_dwordx2 s[38:39], s[4:5], 0x10
	v_and_b32_e32 v4, 0x3ff, v0
	s_mov_b64 s[0:1], -1
	s_waitcnt lgkmcnt(0)
	s_mul_hi_i32 s19, s42, s6
	s_mul_i32 s18, s42, s6
	s_ashr_i32 s63, s42, 31
	s_lshl_b64 s[44:45], s[18:19], 2
	s_add_u32 s33, s38, s44
	s_mul_i32 s62, s7, s42
	s_addc_u32 s43, s39, s45
	s_cmp_gt_i32 s62, s42
	v_cmp_gt_i32_e32 vcc, s62, v4
	s_cbranch_scc1 .LBB9_18
; %bb.1:
	s_and_saveexec_b64 s[2:3], vcc
	s_cbranch_execz .LBB9_9
; %bb.2:
	v_xad_u32 v1, v4, -1, s62
	s_movk_i32 s0, 0xbff
	v_cmp_lt_u32_e32 vcc, s0, v1
	s_mov_b64 s[0:1], -1
	v_mov_b32_e32 v2, v4
	s_and_saveexec_b64 s[8:9], vcc
	s_cbranch_execz .LBB9_6
; %bb.3:
	v_lshrrev_b32_e32 v1, 10, v1
	v_add_u32_e32 v1, 1, v1
	v_and_b32_e32 v8, 0x7ffffc, v1
	v_or_b32_e32 v5, 0x400, v4
	s_mov_b64 s[10:11], 0
	v_mov_b32_e32 v9, s43
	v_mov_b32_e32 v3, 0
	v_mov_b32_e32 v10, v8
	v_mov_b32_e32 v11, v4
	v_pk_mov_b32 v[6:7], v[4:5], v[4:5] op_sel:[0,1]
.LBB9_4:                                ; =>This Inner Loop Header: Depth=1
	v_mov_b32_e32 v2, v6
	v_lshlrev_b64 v[16:17], 2, v[2:3]
	v_add_u32_e32 v14, 0x800, v6
	v_mov_b32_e32 v15, v3
	v_add_co_u32_e64 v16, s[0:1], s33, v16
	v_add_u32_e32 v10, -4, v10
	v_mov_b32_e32 v2, v7
	v_lshlrev_b64 v[14:15], 2, v[14:15]
	v_addc_co_u32_e64 v17, s[0:1], v9, v17, s[0:1]
	v_add_u32_e32 v12, 0x800, v7
	v_mov_b32_e32 v13, v3
	v_cmp_eq_u32_e32 vcc, 0, v10
	v_lshlrev_b64 v[18:19], 2, v[2:3]
	v_add_co_u32_e64 v14, s[0:1], s33, v14
	v_lshlrev_b64 v[12:13], 2, v[12:13]
	v_addc_co_u32_e64 v15, s[0:1], v9, v15, s[0:1]
	s_or_b64 s[10:11], vcc, s[10:11]
	v_add_co_u32_e32 v18, vcc, s33, v18
	v_add_u32_e32 v5, 0x400, v11
	v_add_u32_e32 v20, 0x800, v11
	;; [unrolled: 1-line block ×5, first 2 shown]
	v_add_co_u32_e64 v12, s[0:1], s33, v12
	v_addc_co_u32_e32 v19, vcc, v9, v19, vcc
	global_store_dword v[16:17], v11, off
	v_add_u32_e32 v11, 0x1000, v11
	v_addc_co_u32_e64 v13, s[0:1], v9, v13, s[0:1]
	global_store_dword v[18:19], v5, off
	global_store_dword v[14:15], v20, off
	;; [unrolled: 1-line block ×3, first 2 shown]
	s_andn2_b64 exec, exec, s[10:11]
	s_cbranch_execnz .LBB9_4
; %bb.5:
	s_or_b64 exec, exec, s[10:11]
	v_cmp_ne_u32_e32 vcc, v1, v8
	v_lshl_or_b32 v2, v8, 10, v4
	s_orn2_b64 s[0:1], vcc, exec
.LBB9_6:
	s_or_b64 exec, exec, s[8:9]
	s_and_b64 exec, exec, s[0:1]
	s_cbranch_execz .LBB9_9
; %bb.7:
	v_mov_b32_e32 v3, 0
	s_add_u32 s0, s38, s44
	v_lshlrev_b64 v[6:7], 2, v[2:3]
	s_addc_u32 s1, s39, s45
	v_mov_b32_e32 v1, s1
	v_add_co_u32_e32 v6, vcc, s0, v6
	v_addc_co_u32_e32 v7, vcc, v1, v7, vcc
	s_mov_b64 s[8:9], 0
.LBB9_8:                                ; =>This Inner Loop Header: Depth=1
	global_store_dword v[6:7], v2, off
	v_add_u32_e32 v2, 0x400, v2
	v_add_co_u32_e32 v6, vcc, 0x1000, v6
	v_cmp_le_i32_e64 s[0:1], s62, v2
	s_or_b64 s[8:9], s[0:1], s[8:9]
	v_addc_co_u32_e32 v7, vcc, 0, v7, vcc
	s_andn2_b64 exec, exec, s[8:9]
	s_cbranch_execnz .LBB9_8
.LBB9_9:
	s_or_b64 exec, exec, s[2:3]
	v_add_u32_e32 v2, s62, v4
	v_cmp_gt_i32_e32 vcc, s42, v2
	s_and_saveexec_b64 s[2:3], vcc
	s_cbranch_execz .LBB9_17
; %bb.10:
	v_add_u32_e32 v3, 0x400, v2
	v_max_i32_e32 v1, s42, v3
	v_xad_u32 v1, s62, -1, v1
	v_sub_u32_e32 v1, v1, v4
	s_movk_i32 s0, 0xbff
	v_cmp_lt_u32_e32 vcc, s0, v1
	s_mov_b64 s[0:1], -1
	s_and_saveexec_b64 s[8:9], vcc
	s_cbranch_execz .LBB9_14
; %bb.11:
	v_lshrrev_b32_e32 v1, 10, v1
	v_add_u32_e32 v1, 1, v1
	v_and_b32_e32 v5, 0x7ffffc, v1
	s_mov_b64 s[10:11], 0
	v_mov_b32_e32 v8, s43
	v_mov_b32_e32 v9, -1
	v_mov_b32_e32 v10, v5
	v_pk_mov_b32 v[6:7], v[2:3], v[2:3] op_sel:[0,1]
.LBB9_12:                               ; =>This Inner Loop Header: Depth=1
	v_add_u32_e32 v12, 0x800, v6
	v_ashrrev_i32_e32 v19, 31, v6
	v_mov_b32_e32 v18, v6
	v_add_u32_e32 v10, -4, v10
	v_ashrrev_i32_e32 v13, 31, v12
	v_add_u32_e32 v14, 0x800, v7
	v_lshlrev_b64 v[18:19], 2, v[18:19]
	v_cmp_eq_u32_e32 vcc, 0, v10
	v_lshlrev_b64 v[12:13], 2, v[12:13]
	v_ashrrev_i32_e32 v17, 31, v7
	v_mov_b32_e32 v16, v7
	v_ashrrev_i32_e32 v15, 31, v14
	v_add_co_u32_e64 v18, s[0:1], s33, v18
	s_or_b64 s[10:11], vcc, s[10:11]
	v_add_co_u32_e32 v12, vcc, s33, v12
	v_lshlrev_b64 v[16:17], 2, v[16:17]
	v_addc_co_u32_e64 v19, s[0:1], v8, v19, s[0:1]
	v_lshlrev_b64 v[14:15], 2, v[14:15]
	v_addc_co_u32_e32 v13, vcc, v8, v13, vcc
	v_add_u32_e32 v7, 0x1000, v7
	v_add_u32_e32 v6, 0x1000, v6
	v_add_co_u32_e64 v16, s[0:1], s33, v16
	v_add_co_u32_e32 v14, vcc, s33, v14
	v_addc_co_u32_e64 v17, s[0:1], v8, v17, s[0:1]
	v_addc_co_u32_e32 v15, vcc, v8, v15, vcc
	global_store_dword v[18:19], v9, off
	global_store_dword v[16:17], v9, off
	;; [unrolled: 1-line block ×4, first 2 shown]
	s_andn2_b64 exec, exec, s[10:11]
	s_cbranch_execnz .LBB9_12
; %bb.13:
	s_or_b64 exec, exec, s[10:11]
	v_cmp_ne_u32_e32 vcc, v1, v5
	v_lshl_add_u32 v2, v5, 10, v2
	s_orn2_b64 s[0:1], vcc, exec
.LBB9_14:
	s_or_b64 exec, exec, s[8:9]
	s_and_b64 exec, exec, s[0:1]
	s_cbranch_execz .LBB9_17
; %bb.15:
	v_ashrrev_i32_e32 v3, 31, v2
	s_add_u32 s0, s38, s44
	v_lshlrev_b64 v[6:7], 2, v[2:3]
	s_addc_u32 s1, s39, s45
	v_mov_b32_e32 v1, s1
	v_add_co_u32_e32 v6, vcc, s0, v6
	v_addc_co_u32_e32 v7, vcc, v1, v7, vcc
	s_mov_b64 s[8:9], 0
	v_mov_b32_e32 v1, -1
.LBB9_16:                               ; =>This Inner Loop Header: Depth=1
	v_add_u32_e32 v2, 0x400, v2
	global_store_dword v[6:7], v1, off
	v_add_co_u32_e32 v6, vcc, 0x1000, v6
	v_cmp_le_i32_e64 s[0:1], s42, v2
	s_or_b64 s[8:9], s[0:1], s[8:9]
	v_addc_co_u32_e32 v7, vcc, 0, v7, vcc
	s_andn2_b64 exec, exec, s[8:9]
	s_cbranch_execnz .LBB9_16
.LBB9_17:
	s_or_b64 exec, exec, s[2:3]
	s_mov_b64 s[0:1], 0
.LBB9_18:
	s_and_b64 vcc, exec, s[0:1]
	s_cbranch_vccz .LBB9_577
; %bb.19:
	v_cmp_ne_u32_e64 s[0:1], 0, v4
	v_cmp_eq_u32_e64 s[2:3], 0, v4
	s_and_saveexec_b64 s[8:9], s[2:3]
	s_cbranch_execz .LBB9_21
; %bb.20:
	s_movk_i32 s10, 0x4000
	v_mov_b32_e32 v1, 0
	v_add_u32_e64 v2, s10, 0
	ds_write2_b32 v2, v1, v1 offset0:80 offset1:82
.LBB9_21:
	s_or_b64 exec, exec, s[8:9]
	s_load_dwordx2 s[48:49], s[4:5], 0x0
	s_mul_hi_i32 s9, s40, s6
	s_mul_i32 s8, s40, s6
	s_lshl_b64 s[50:51], s[8:9], 2
	v_lshlrev_b32_e32 v20, 2, v4
	s_waitcnt lgkmcnt(0)
	s_add_u32 s46, s48, s50
	s_addc_u32 s47, s49, s51
	s_cmp_lg_u32 s41, 1
	v_mov_b32_e32 v1, 0
	v_add_u32_e32 v2, 0x80, v20
	s_cselect_b64 s[58:59], -1, 0
	s_cmp_eq_u32 s41, 1
	s_mov_b64 s[8:9], -1
	s_barrier
	ds_write2st64_b32 v2, v1, v1 offset0:16 offset1:32
	s_waitcnt lgkmcnt(0)
	s_barrier
	s_cbranch_scc1 .LBB9_26
; %bb.22:
	v_cmp_gt_i32_e32 vcc, s62, v4
	s_and_saveexec_b64 s[8:9], vcc
	s_cbranch_execz .LBB9_25
; %bb.23:
	v_mul_lo_u32 v2, v4, s41
	s_lshl_b32 s12, s41, 10
	s_mov_b64 s[10:11], 0
	v_mov_b32_e32 v1, s47
	v_mov_b32_e32 v5, 1
	;; [unrolled: 1-line block ×3, first 2 shown]
.LBB9_24:                               ; =>This Inner Loop Header: Depth=1
	v_ashrrev_i32_e32 v3, 31, v2
	v_lshlrev_b64 v[8:9], 2, v[2:3]
	v_add_co_u32_e32 v8, vcc, s46, v8
	v_addc_co_u32_e32 v9, vcc, v1, v9, vcc
	global_load_dword v3, v[8:9], off
	v_add_u32_e32 v6, 0x400, v6
	v_add_u32_e32 v2, s12, v2
	s_waitcnt vmcnt(0)
	v_cvt_f16_f32_e32 v3, v3
	v_xor_b32_e32 v7, -1, v3
	v_and_b32_e32 v7, 0x7fe0, v7
	v_cmp_gt_i16_e32 vcc, 0, v3
	v_cndmask_b32_e32 v3, v7, v3, vcc
	v_lshrrev_b16_e32 v3, 5, v3
	v_lshlrev_b32_e32 v3, 2, v3
	ds_add_u32 v3, v5 offset:4224
	v_cmp_le_i32_e32 vcc, s62, v6
	s_or_b64 s[10:11], vcc, s[10:11]
	s_andn2_b64 exec, exec, s[10:11]
	s_cbranch_execnz .LBB9_24
.LBB9_25:
	s_or_b64 exec, exec, s[8:9]
	s_mov_b64 s[8:9], 0
.LBB9_26:
	s_andn2_b64 vcc, exec, s[8:9]
	s_cbranch_vccnz .LBB9_35
; %bb.27:
	s_and_b32 s8, s46, 15
	s_sub_i32 s10, 16, s8
	s_mov_b32 s9, 0
	s_lshr_b32 s10, s10, 2
	s_cmp_lg_u64 s[8:9], 0
	s_cselect_b32 s8, s10, 0
	s_min_i32 s20, s8, s62
	s_sub_i32 s8, s62, s20
	s_ashr_i32 s9, s8, 31
	s_lshr_b32 s9, s9, 30
	s_add_i32 s8, s8, s9
	s_ashr_i32 s26, s8, 2
	s_mov_b64 s[22:23], 0
	s_ashr_i32 s21, s20, 31
	v_cmp_gt_i32_e32 vcc, s26, v4
	s_and_saveexec_b64 s[24:25], vcc
	s_cbranch_execz .LBB9_30
; %bb.28:
	s_lshl_b64 s[8:9], s[20:21], 2
	s_add_u32 s8, s48, s8
	s_addc_u32 s9, s49, s9
	s_add_u32 s8, s8, s50
	v_lshlrev_b32_e32 v1, 4, v4
	s_addc_u32 s9, s9, s51
	v_mov_b32_e32 v2, s9
	v_add_co_u32_e32 v1, vcc, s8, v1
	v_addc_co_u32_e32 v3, vcc, 0, v2, vcc
	v_add_co_u32_e32 v2, vcc, 8, v1
	v_addc_co_u32_e32 v3, vcc, 0, v3, vcc
	v_mov_b32_e32 v1, 1
	v_mov_b32_e32 v5, v4
.LBB9_29:                               ; =>This Inner Loop Header: Depth=1
	global_load_dwordx4 v[6:9], v[2:3], off offset:-8
	v_add_u32_e32 v5, 0x400, v5
	v_add_co_u32_e32 v2, vcc, 0x4000, v2
	v_cmp_le_i32_e64 s[8:9], s26, v5
	s_or_b64 s[22:23], s[8:9], s[22:23]
	v_addc_co_u32_e32 v3, vcc, 0, v3, vcc
	s_waitcnt vmcnt(0)
	v_cvt_f16_f32_e32 v6, v6
	v_cvt_f16_f32_e32 v7, v7
	;; [unrolled: 1-line block ×4, first 2 shown]
	v_xor_b32_e32 v10, -1, v6
	v_xor_b32_e32 v11, -1, v7
	;; [unrolled: 1-line block ×4, first 2 shown]
	v_and_b32_e32 v10, 0x7fe0, v10
	v_cmp_gt_i16_e64 s[16:17], 0, v6
	v_and_b32_e32 v11, 0x7fe0, v11
	v_cmp_gt_i16_e64 s[10:11], 0, v7
	v_and_b32_e32 v12, 0x7fe0, v12
	v_cmp_gt_i16_e64 s[12:13], 0, v8
	v_and_b32_e32 v13, 0x7fe0, v13
	v_cmp_gt_i16_e64 s[14:15], 0, v9
	v_cndmask_b32_e64 v6, v10, v6, s[16:17]
	v_cndmask_b32_e64 v7, v11, v7, s[10:11]
	;; [unrolled: 1-line block ×4, first 2 shown]
	v_lshrrev_b16_e32 v6, 5, v6
	v_lshrrev_b16_e32 v7, 5, v7
	;; [unrolled: 1-line block ×4, first 2 shown]
	v_lshlrev_b32_e32 v6, 2, v6
	v_lshlrev_b32_e32 v7, 2, v7
	;; [unrolled: 1-line block ×4, first 2 shown]
	ds_add_u32 v6, v1 offset:4224
	ds_add_u32 v7, v1 offset:4224
	;; [unrolled: 1-line block ×4, first 2 shown]
	s_andn2_b64 exec, exec, s[22:23]
	s_cbranch_execnz .LBB9_29
.LBB9_30:
	s_or_b64 exec, exec, s[24:25]
	v_cmp_gt_u32_e32 vcc, s20, v4
	s_and_saveexec_b64 s[8:9], vcc
	s_cbranch_execz .LBB9_32
; %bb.31:
	global_load_dword v1, v20, s[46:47]
	s_waitcnt vmcnt(0)
	v_cvt_f16_f32_e32 v1, v1
	v_xor_b32_e32 v2, -1, v1
	v_and_b32_e32 v2, 0x7fe0, v2
	v_cmp_gt_i16_e32 vcc, 0, v1
	v_cndmask_b32_e32 v1, v2, v1, vcc
	v_lshrrev_b16_e32 v1, 5, v1
	v_lshlrev_b32_e32 v1, 2, v1
	v_mov_b32_e32 v2, 1
	ds_add_u32 v1, v2 offset:4224
.LBB9_32:
	s_or_b64 exec, exec, s[8:9]
	s_lshl_b32 s8, s26, 2
	s_add_i32 s8, s8, s20
	v_add_u32_e32 v2, s8, v4
	v_cmp_gt_i32_e32 vcc, s62, v2
	s_and_saveexec_b64 s[8:9], vcc
	s_cbranch_execz .LBB9_34
; %bb.33:
	v_ashrrev_i32_e32 v3, 31, v2
	v_lshlrev_b64 v[2:3], 2, v[2:3]
	v_mov_b32_e32 v1, s47
	v_add_co_u32_e32 v2, vcc, s46, v2
	v_addc_co_u32_e32 v3, vcc, v1, v3, vcc
	global_load_dword v1, v[2:3], off
	s_waitcnt vmcnt(0)
	v_cvt_f16_f32_e32 v1, v1
	v_xor_b32_e32 v2, -1, v1
	v_and_b32_e32 v2, 0x7fe0, v2
	v_cmp_gt_i16_e32 vcc, 0, v1
	v_cndmask_b32_e32 v1, v2, v1, vcc
	v_lshrrev_b16_e32 v1, 5, v1
	v_lshlrev_b32_e32 v1, 2, v1
	v_mov_b32_e32 v2, 1
	ds_add_u32 v1, v2 offset:4224
.LBB9_34:
	s_or_b64 exec, exec, s[8:9]
.LBB9_35:
	v_lshrrev_b32_e32 v3, 3, v4
	v_and_b32_e32 v3, 0x7c, v3
	v_mov_b32_e32 v2, 0
	v_add_u32_e32 v13, v20, v3
	v_lshlrev_b32_e32 v5, 4, v4
	v_lshrrev_b32_e32 v3, 1, v4
	s_waitcnt lgkmcnt(0)
	s_barrier
	ds_read_b32 v1, v2 offset:16712
	v_add_lshl_u32 v12, v3, v5, 2
	ds_read_b32 v3, v20 offset:4224
	s_load_dwordx2 s[8:9], s[4:5], 0x54
	v_cmp_lt_u32_e64 s[12:13], 63, v4
	v_cmp_gt_u32_e64 s[14:15], 64, v4
	s_waitcnt lgkmcnt(0)
	s_barrier
	ds_write_b32 v13, v3
	s_waitcnt lgkmcnt(0)
	s_barrier
	s_and_saveexec_b64 s[10:11], s[14:15]
	s_cbranch_execz .LBB9_37
; %bb.36:
	ds_read2_b32 v[6:7], v12 offset1:1
	ds_read2_b32 v[8:9], v12 offset0:2 offset1:3
	ds_read2_b32 v[10:11], v12 offset0:4 offset1:5
	;; [unrolled: 1-line block ×3, first 2 shown]
	v_mbcnt_lo_u32_b32 v26, -1, 0
	s_waitcnt lgkmcnt(3)
	v_add_u32_e32 v16, v7, v6
	s_waitcnt lgkmcnt(2)
	v_add3_u32 v16, v16, v8, v9
	s_waitcnt lgkmcnt(1)
	v_add3_u32 v21, v16, v10, v11
	ds_read2_b32 v[16:17], v12 offset0:8 offset1:9
	ds_read2_b32 v[18:19], v12 offset0:10 offset1:11
	;; [unrolled: 1-line block ×4, first 2 shown]
	s_waitcnt lgkmcnt(4)
	v_add3_u32 v21, v21, v14, v15
	s_waitcnt lgkmcnt(3)
	v_add3_u32 v21, v21, v16, v17
	;; [unrolled: 2-line block ×4, first 2 shown]
	v_mbcnt_hi_u32_b32 v26, -1, v26
	s_waitcnt lgkmcnt(0)
	v_add3_u32 v21, v21, v24, v25
	v_and_b32_e32 v27, 15, v26
	v_cmp_ne_u32_e32 vcc, 0, v27
	v_mov_b32_dpp v28, v21 row_shr:1 row_mask:0xf bank_mask:0xf
	v_cndmask_b32_e32 v28, 0, v28, vcc
	v_add_u32_e32 v21, v28, v21
	v_cmp_lt_u32_e32 vcc, 1, v27
	s_nop 0
	v_mov_b32_dpp v28, v21 row_shr:2 row_mask:0xf bank_mask:0xf
	v_cndmask_b32_e32 v28, 0, v28, vcc
	v_add_u32_e32 v21, v21, v28
	v_cmp_lt_u32_e32 vcc, 3, v27
	s_nop 0
	;; [unrolled: 5-line block ×3, first 2 shown]
	v_mov_b32_dpp v28, v21 row_shr:8 row_mask:0xf bank_mask:0xf
	v_cndmask_b32_e32 v27, 0, v28, vcc
	v_add_u32_e32 v21, v21, v27
	v_bfe_i32 v28, v26, 4, 1
	v_cmp_lt_u32_e32 vcc, 31, v26
	v_mov_b32_dpp v27, v21 row_bcast:15 row_mask:0xf bank_mask:0xf
	v_and_b32_e32 v27, v28, v27
	v_add_u32_e32 v21, v21, v27
	v_and_b32_e32 v28, 64, v26
	s_nop 0
	v_mov_b32_dpp v27, v21 row_bcast:31 row_mask:0xf bank_mask:0xf
	v_cndmask_b32_e32 v27, 0, v27, vcc
	v_add_u32_e32 v21, v21, v27
	v_add_u32_e32 v27, -1, v26
	v_cmp_lt_i32_e32 vcc, v27, v28
	v_cndmask_b32_e32 v26, v27, v26, vcc
	v_lshlrev_b32_e32 v26, 2, v26
	ds_bpermute_b32 v21, v26, v21
	s_waitcnt lgkmcnt(0)
	v_add_u32_e32 v6, v21, v6
	v_cndmask_b32_e64 v3, v6, v3, s[2:3]
	v_add_u32_e32 v6, v3, v7
	ds_write2_b32 v12, v3, v6 offset1:1
	v_add_u32_e32 v3, v6, v8
	v_add_u32_e32 v6, v3, v9
	ds_write2_b32 v12, v3, v6 offset0:2 offset1:3
	v_add_u32_e32 v3, v6, v10
	v_add_u32_e32 v6, v3, v11
	ds_write2_b32 v12, v3, v6 offset0:4 offset1:5
	v_add_u32_e32 v3, v6, v14
	v_add_u32_e32 v6, v3, v15
	ds_write2_b32 v12, v3, v6 offset0:6 offset1:7
	v_add_u32_e32 v3, v6, v16
	v_add_u32_e32 v6, v3, v17
	ds_write2_b32 v12, v3, v6 offset0:8 offset1:9
	v_add_u32_e32 v3, v6, v18
	v_add_u32_e32 v6, v3, v19
	ds_write2_b32 v12, v3, v6 offset0:10 offset1:11
	v_add_u32_e32 v3, v6, v22
	v_add_u32_e32 v6, v3, v23
	ds_write2_b32 v12, v3, v6 offset0:12 offset1:13
	v_add_u32_e32 v3, v6, v24
	v_add_u32_e32 v6, v3, v25
	ds_write2_b32 v12, v3, v6 offset0:14 offset1:15
.LBB9_37:
	s_or_b64 exec, exec, s[10:11]
	v_add_u32_e32 v3, -1, v4
	v_lshrrev_b32_e32 v6, 5, v3
	s_and_b32 s9, s9, 0xffff
	v_add_lshl_u32 v15, v6, v3, 2
	s_waitcnt lgkmcnt(0)
	s_barrier
	s_and_saveexec_b64 s[10:11], s[0:1]
	s_cbranch_execz .LBB9_39
; %bb.38:
	ds_read_b32 v2, v15
.LBB9_39:
	s_or_b64 exec, exec, s[10:11]
	v_mov_b32_e32 v6, 0
	ds_read_b32 v7, v6 offset:4216
	s_movk_i32 s10, 0x3ff
	s_waitcnt lgkmcnt(1)
	v_add_u32_e32 v2, v2, v1
	s_lshr_b32 s20, s8, 16
	v_bfe_u32 v3, v0, 20, 10
	v_add_u32_e32 v14, 0x1080, v20
	v_cmp_ne_u32_e64 s[34:35], s10, v4
	s_waitcnt lgkmcnt(0)
	v_add_u32_e32 v1, v7, v1
	v_cmp_gt_i32_e32 vcc, s42, v2
	ds_write_b32 v20, v2 offset:4224
	s_waitcnt lgkmcnt(0)
	s_barrier
	s_and_saveexec_b64 s[10:11], vcc
	s_cbranch_execz .LBB9_45
; %bb.40:
	v_mov_b32_e32 v7, v1
	s_and_saveexec_b64 s[16:17], s[34:35]
	s_cbranch_execz .LBB9_42
; %bb.41:
	ds_read_b32 v7, v14 offset:4
.LBB9_42:
	s_or_b64 exec, exec, s[16:17]
	s_waitcnt lgkmcnt(0)
	v_cmp_le_i32_e32 vcc, s42, v7
	v_mov_b32_e32 v6, 0
	s_and_saveexec_b64 s[16:17], vcc
	s_cbranch_execz .LBB9_44
; %bb.43:
	s_movk_i32 s21, 0x4000
	v_sub_u32_e32 v2, v7, v2
	v_add_u32_e64 v6, s21, 0
	ds_write2_b32 v6, v2, v4 offset0:81 offset1:83
	v_mov_b32_e32 v6, 1
.LBB9_44:
	s_or_b64 exec, exec, s[16:17]
.LBB9_45:
	s_or_b64 exec, exec, s[10:11]
	s_and_b32 s8, s8, 0xffff
	v_mul_u32_u24_e32 v2, s20, v3
	s_mul_i32 s20, s20, s8
	v_or_b32_dpp v3, v6, v6 row_shl:1 row_mask:0xf bank_mask:0xf bound_ctrl:1
	s_and_b32 s9, s9, 0xffff
	s_bfe_i32 s10, s20, 0x180000
	v_or_b32_dpp v3, v3, v3 row_shl:2 row_mask:0xf bank_mask:0xf bound_ctrl:1
	s_mul_i32 s9, s10, s9
	s_add_i32 s9, s9, 63
	v_or_b32_dpp v3, v3, v3 row_shl:4 row_mask:0xf bank_mask:0xf bound_ctrl:1
	s_andn2_b32 s9, s9, 63
	s_cmp_lg_u32 s9, 64
	v_or_b32_dpp v3, v3, v3 row_shl:8 row_mask:0xf bank_mask:0xf bound_ctrl:1
	s_cselect_b64 s[56:57], -1, 0
	s_bitcmp1_b32 exec_hi, 0
	v_mov_b32_dpp v6, v3 wave_shl:1 row_mask:0xf bank_mask:0xf bound_ctrl:1
	v_bfe_u32 v0, v0, 10, 10
	v_add_u32_e32 v0, v2, v0
	v_or_b32_dpp v3, v6, v3 row_mirror row_mask:0xf bank_mask:0xf bound_ctrl:1
	v_readlane_b32 s10, v3, 32
	s_cselect_b32 s10, s10, 0
	v_readlane_b32 s11, v3, 0
	s_or_b32 s16, s10, s11
	s_cmp_eq_u32 s9, 64
	v_mad_u64_u32 v[2:3], s[8:9], v0, s8, v[4:5]
	v_lshrrev_b32_e32 v16, 6, v2
	v_cmp_lt_u32_e64 s[8:9], 63, v2
	v_mov_b32_e32 v0, s16
	s_cbranch_scc1 .LBB9_52
; %bb.46:
	v_mbcnt_lo_u32_b32 v0, -1, 0
	v_mbcnt_hi_u32_b32 v0, -1, v0
	v_or_b32_e32 v2, v0, v16
	v_cmp_eq_u32_e32 vcc, 0, v2
	s_and_saveexec_b64 s[10:11], vcc
	s_cbranch_execz .LBB9_48
; %bb.47:
	v_mov_b32_e32 v2, 0
	v_mov_b32_e32 v3, s16
	ds_write_b32 v2, v3 offset:16448
.LBB9_48:
	s_or_b64 exec, exec, s[10:11]
	v_cmp_eq_u32_e32 vcc, 0, v0
	s_and_b64 s[20:21], s[8:9], vcc
	s_waitcnt lgkmcnt(0)
	s_barrier
	s_and_saveexec_b64 s[10:11], s[20:21]
	s_cbranch_execz .LBB9_51
; %bb.49:
	v_mbcnt_lo_u32_b32 v0, exec_lo, 0
	v_mbcnt_hi_u32_b32 v0, exec_hi, v0
	v_cmp_eq_u32_e32 vcc, 0, v0
	s_and_b64 exec, exec, vcc
	s_cbranch_execz .LBB9_51
; %bb.50:
	v_mov_b32_e32 v0, 0
	v_mov_b32_e32 v2, s16
	ds_or_b32 v0, v2 offset:16448
.LBB9_51:
	s_or_b64 exec, exec, s[10:11]
	v_mov_b32_e32 v0, 0
	s_waitcnt lgkmcnt(0)
	s_barrier
	ds_read_b32 v0, v0 offset:16448
	s_waitcnt lgkmcnt(0)
	s_barrier
.LBB9_52:
	v_cmp_eq_u32_e32 vcc, 0, v0
	s_cbranch_vccz .LBB9_70
; %bb.53:
	ds_read_b32 v0, v14 offset:4096
	s_waitcnt lgkmcnt(0)
	s_barrier
	ds_write_b32 v13, v0
	s_waitcnt lgkmcnt(0)
	s_barrier
	s_and_saveexec_b64 s[10:11], s[14:15]
	s_cbranch_execz .LBB9_55
; %bb.54:
	ds_read2_b32 v[2:3], v12 offset1:1
	ds_read2_b32 v[6:7], v12 offset0:2 offset1:3
	ds_read2_b32 v[8:9], v12 offset0:4 offset1:5
	;; [unrolled: 1-line block ×7, first 2 shown]
	s_waitcnt lgkmcnt(7)
	v_add_u32_e32 v17, v3, v2
	s_waitcnt lgkmcnt(6)
	v_add3_u32 v17, v17, v6, v7
	s_waitcnt lgkmcnt(5)
	v_add3_u32 v17, v17, v8, v9
	;; [unrolled: 2-line block ×5, first 2 shown]
	v_mbcnt_lo_u32_b32 v21, -1, 0
	s_waitcnt lgkmcnt(1)
	v_add3_u32 v17, v17, v24, v25
	v_mbcnt_hi_u32_b32 v21, -1, v21
	s_waitcnt lgkmcnt(0)
	v_add3_u32 v17, v17, v26, v27
	v_and_b32_e32 v28, 15, v21
	v_cmp_ne_u32_e32 vcc, 0, v28
	v_mov_b32_dpp v29, v17 row_shr:1 row_mask:0xf bank_mask:0xf
	v_cndmask_b32_e32 v29, 0, v29, vcc
	v_add_u32_e32 v17, v29, v17
	v_cmp_lt_u32_e32 vcc, 1, v28
	s_nop 0
	v_mov_b32_dpp v29, v17 row_shr:2 row_mask:0xf bank_mask:0xf
	v_cndmask_b32_e32 v29, 0, v29, vcc
	v_add_u32_e32 v17, v17, v29
	v_cmp_lt_u32_e32 vcc, 3, v28
	s_nop 0
	;; [unrolled: 5-line block ×3, first 2 shown]
	v_mov_b32_dpp v29, v17 row_shr:8 row_mask:0xf bank_mask:0xf
	v_cndmask_b32_e32 v28, 0, v29, vcc
	v_add_u32_e32 v17, v17, v28
	v_bfe_i32 v29, v21, 4, 1
	v_cmp_lt_u32_e32 vcc, 31, v21
	v_mov_b32_dpp v28, v17 row_bcast:15 row_mask:0xf bank_mask:0xf
	v_and_b32_e32 v28, v29, v28
	v_add_u32_e32 v17, v17, v28
	v_and_b32_e32 v29, 64, v21
	s_nop 0
	v_mov_b32_dpp v28, v17 row_bcast:31 row_mask:0xf bank_mask:0xf
	v_cndmask_b32_e32 v28, 0, v28, vcc
	v_add_u32_e32 v17, v17, v28
	v_add_u32_e32 v28, -1, v21
	v_cmp_lt_i32_e32 vcc, v28, v29
	v_cndmask_b32_e32 v21, v28, v21, vcc
	v_lshlrev_b32_e32 v21, 2, v21
	ds_bpermute_b32 v17, v21, v17
	s_waitcnt lgkmcnt(0)
	v_add_u32_e32 v2, v17, v2
	v_cndmask_b32_e64 v0, v2, v0, s[2:3]
	v_add_u32_e32 v2, v0, v3
	ds_write2_b32 v12, v0, v2 offset1:1
	v_add_u32_e32 v0, v2, v6
	v_add_u32_e32 v2, v0, v7
	ds_write2_b32 v12, v0, v2 offset0:2 offset1:3
	v_add_u32_e32 v0, v2, v8
	v_add_u32_e32 v2, v0, v9
	ds_write2_b32 v12, v0, v2 offset0:4 offset1:5
	v_add_u32_e32 v0, v2, v10
	v_add_u32_e32 v2, v0, v11
	ds_write2_b32 v12, v0, v2 offset0:6 offset1:7
	v_add_u32_e32 v0, v2, v18
	v_add_u32_e32 v2, v0, v19
	ds_write2_b32 v12, v0, v2 offset0:8 offset1:9
	v_add_u32_e32 v0, v2, v22
	v_add_u32_e32 v2, v0, v23
	ds_write2_b32 v12, v0, v2 offset0:10 offset1:11
	v_add_u32_e32 v0, v2, v24
	v_add_u32_e32 v2, v0, v25
	ds_write2_b32 v12, v0, v2 offset0:12 offset1:13
	v_add_u32_e32 v0, v2, v26
	v_add_u32_e32 v2, v0, v27
	ds_write2_b32 v12, v0, v2 offset0:14 offset1:15
.LBB9_55:
	s_or_b64 exec, exec, s[10:11]
	v_mov_b32_e32 v0, 0
	v_mov_b32_e32 v2, 0
	s_waitcnt lgkmcnt(0)
	s_barrier
	s_and_saveexec_b64 s[10:11], s[0:1]
	s_cbranch_execz .LBB9_57
; %bb.56:
	ds_read_b32 v2, v15
.LBB9_57:
	s_or_b64 exec, exec, s[10:11]
	ds_read_b32 v3, v0 offset:4216
	s_waitcnt lgkmcnt(1)
	v_add_u32_e32 v2, v2, v1
	v_cmp_gt_i32_e32 vcc, s42, v2
	ds_write_b32 v14, v2 offset:4096
	s_waitcnt lgkmcnt(0)
	s_barrier
	s_and_saveexec_b64 s[10:11], vcc
	s_cbranch_execz .LBB9_63
; %bb.58:
	v_add_u32_e32 v1, v3, v1
	s_and_saveexec_b64 s[16:17], s[34:35]
	s_cbranch_execz .LBB9_60
; %bb.59:
	ds_read_b32 v1, v14 offset:4100
.LBB9_60:
	s_or_b64 exec, exec, s[16:17]
	s_waitcnt lgkmcnt(0)
	v_cmp_le_i32_e32 vcc, s42, v1
	v_mov_b32_e32 v0, 0
	s_and_saveexec_b64 s[16:17], vcc
	s_cbranch_execz .LBB9_62
; %bb.61:
	s_movk_i32 s20, 0x4000
	v_or_b32_e32 v0, 0x400, v4
	v_sub_u32_e32 v1, v1, v2
	v_add_u32_e64 v2, s20, 0
	ds_write2_b32 v2, v1, v0 offset0:81 offset1:83
	v_mov_b32_e32 v0, 1
.LBB9_62:
	s_or_b64 exec, exec, s[16:17]
.LBB9_63:
	s_or_b64 exec, exec, s[10:11]
	v_or_b32_dpp v0, v0, v0 row_shl:1 row_mask:0xf bank_mask:0xf bound_ctrl:1
	s_andn2_b64 vcc, exec, s[56:57]
	s_nop 0
	v_or_b32_dpp v0, v0, v0 row_shl:2 row_mask:0xf bank_mask:0xf bound_ctrl:1
	s_nop 1
	v_or_b32_dpp v0, v0, v0 row_shl:4 row_mask:0xf bank_mask:0xf bound_ctrl:1
	;; [unrolled: 2-line block ×3, first 2 shown]
	s_nop 1
	v_mov_b32_dpp v1, v0 wave_shl:1 row_mask:0xf bank_mask:0xf bound_ctrl:1
	s_nop 1
	v_or_b32_dpp v0, v1, v0 row_mirror row_mask:0xf bank_mask:0xf bound_ctrl:1
	v_readlane_b32 s10, v0, 32
	v_readlane_b32 s11, v0, 0
	s_cbranch_vccnz .LBB9_70
; %bb.64:
	v_mbcnt_lo_u32_b32 v0, -1, 0
	s_bitcmp1_b32 exec_hi, 0
	v_mbcnt_hi_u32_b32 v0, -1, v0
	s_cselect_b32 s10, s10, 0
	v_or_b32_e32 v1, v0, v16
	s_or_b32 s16, s10, s11
	v_cmp_eq_u32_e32 vcc, 0, v1
	s_and_saveexec_b64 s[10:11], vcc
	s_cbranch_execz .LBB9_66
; %bb.65:
	v_mov_b32_e32 v1, 0
	v_mov_b32_e32 v2, s16
	ds_write_b32 v1, v2 offset:16448
.LBB9_66:
	s_or_b64 exec, exec, s[10:11]
	v_cmp_eq_u32_e32 vcc, 0, v0
	s_and_b64 s[20:21], s[8:9], vcc
	s_waitcnt lgkmcnt(0)
	s_barrier
	s_and_saveexec_b64 s[10:11], s[20:21]
	s_cbranch_execz .LBB9_69
; %bb.67:
	v_mbcnt_lo_u32_b32 v0, exec_lo, 0
	v_mbcnt_hi_u32_b32 v0, exec_hi, v0
	v_cmp_eq_u32_e32 vcc, 0, v0
	s_and_b64 exec, exec, vcc
	s_cbranch_execz .LBB9_69
; %bb.68:
	v_mov_b32_e32 v0, 0
	v_mov_b32_e32 v1, s16
	ds_or_b32 v0, v1 offset:16448
.LBB9_69:
	s_or_b64 exec, exec, s[10:11]
	v_mov_b32_e32 v0, 0
	s_waitcnt lgkmcnt(0)
	s_barrier
	ds_read_b32 v0, v0 offset:16448
	s_waitcnt lgkmcnt(0)
	s_barrier
.LBB9_70:
	s_load_dwordx2 s[54:55], s[4:5], 0x40
	s_ashr_i32 s4, s7, 31
	s_mul_hi_u32 s5, s18, s7
	s_mul_i32 s4, s18, s4
	v_mov_b32_e32 v0, 0
	s_add_i32 s4, s5, s4
	s_mul_i32 s5, s19, s7
	s_waitcnt lgkmcnt(0)
	s_barrier
	ds_read_b32 v17, v0 offset:16716
	s_add_i32 s5, s4, s5
	s_mul_i32 s4, s18, s7
	s_lshl_b64 s[4:5], s[4:5], 2
	s_add_u32 s52, s54, s4
	v_cndmask_b32_e64 v0, 0, 1, s[58:59]
	s_addc_u32 s53, s55, s5
	v_cmp_ne_u32_e64 s[10:11], 1, v0
	s_andn2_b64 vcc, exec, s[58:59]
	s_mov_b64 s[4:5], -1
	s_cbranch_vccnz .LBB9_83
; %bb.71:
	v_cmp_gt_i32_e32 vcc, s62, v4
	s_and_saveexec_b64 s[4:5], vcc
	s_cbranch_execz .LBB9_82
; %bb.72:
	v_mov_b32_e32 v6, 0
	ds_read_b32 v0, v6 offset:16708
	s_mul_i32 s20, s6, s7
	s_mul_hi_i32 s18, s6, s7
	s_mul_i32 s19, s20, s63
	s_mul_hi_u32 s21, s20, s42
	s_waitcnt lgkmcnt(0)
	v_readfirstlane_b32 s16, v0
	s_cmpk_lt_i32 s16, 0x801
	s_cselect_b64 s[16:17], -1, 0
	s_add_i32 s19, s21, s19
	s_mul_i32 s18, s18, s42
	s_add_i32 s19, s19, s18
	s_mul_i32 s18, s20, s42
	s_lshl_b64 s[18:19], s[18:19], 2
	s_add_u32 s18, s54, s18
	s_addc_u32 s19, s55, s19
	v_mov_b32_e32 v1, s19
	v_add_co_u32_e32 v0, vcc, s18, v20
	v_addc_co_u32_e32 v1, vcc, 0, v1, vcc
	v_mul_lo_u32 v2, v4, s41
	s_lshl_b32 s26, s41, 10
	s_mov_b64 s[18:19], 0
	v_mov_b32_e32 v7, s47
	v_mov_b32_e32 v8, 0x4150
	;; [unrolled: 1-line block ×3, first 2 shown]
	s_branch .LBB9_75
.LBB9_73:                               ;   in Loop: Header=BB9_75 Depth=1
	s_or_b64 exec, exec, s[22:23]
	global_load_dword v18, v[0:1], off
	s_waitcnt lgkmcnt(0)
	v_readfirstlane_b32 s22, v11
	v_add_lshl_u32 v10, s22, v10, 2
	s_waitcnt vmcnt(0)
	ds_write2st64_b32 v10, v18, v3 offset1:32
.LBB9_74:                               ;   in Loop: Header=BB9_75 Depth=1
	s_or_b64 exec, exec, s[20:21]
	v_add_co_u32_e32 v0, vcc, 0x1000, v0
	v_add_u32_e32 v9, 0x400, v9
	v_addc_co_u32_e32 v1, vcc, 0, v1, vcc
	v_cmp_le_i32_e32 vcc, s62, v9
	s_or_b64 s[18:19], vcc, s[18:19]
	v_add_u32_e32 v2, s26, v2
	s_andn2_b64 exec, exec, s[18:19]
	s_cbranch_execz .LBB9_82
.LBB9_75:                               ; =>This Inner Loop Header: Depth=1
	v_ashrrev_i32_e32 v3, 31, v2
	v_lshlrev_b64 v[10:11], 2, v[2:3]
	v_add_co_u32_e32 v10, vcc, s46, v10
	v_addc_co_u32_e32 v11, vcc, v7, v11, vcc
	global_load_dword v3, v[10:11], off
	s_waitcnt vmcnt(0)
	v_cvt_f16_f32_e32 v10, v3
	v_xor_b32_e32 v11, -1, v10
	v_and_b32_e32 v11, 0x7fe0, v11
	v_cmp_gt_i16_e32 vcc, 0, v10
	v_cndmask_b32_e32 v10, v11, v10, vcc
	v_lshrrev_b16_e32 v10, 5, v10
	v_cmp_gt_u32_e32 vcc, v17, v10
	s_and_b64 s[22:23], vcc, s[16:17]
	s_and_saveexec_b64 s[20:21], s[22:23]
	s_cbranch_execz .LBB9_79
; %bb.76:                               ;   in Loop: Header=BB9_75 Depth=1
	s_mov_b64 s[24:25], exec
	v_mbcnt_lo_u32_b32 v11, s24, 0
	v_mbcnt_hi_u32_b32 v11, s25, v11
	v_cmp_eq_u32_e32 vcc, 0, v11
                                        ; implicit-def: $vgpr18
	s_and_saveexec_b64 s[22:23], vcc
	s_cbranch_execz .LBB9_78
; %bb.77:                               ;   in Loop: Header=BB9_75 Depth=1
	s_bcnt1_i32_b64 s24, s[24:25]
	v_mov_b32_e32 v18, s24
	ds_add_rtn_u32 v18, v6, v18 offset:16712
.LBB9_78:                               ;   in Loop: Header=BB9_75 Depth=1
	s_or_b64 exec, exec, s[22:23]
	global_load_dword v19, v[0:1], off
	s_waitcnt lgkmcnt(0)
	v_readfirstlane_b32 s22, v18
	v_add_u32_e32 v11, s22, v11
	v_lshl_add_u32 v11, v11, 2, v8
	s_waitcnt vmcnt(0)
	ds_write_b32 v11, v19
.LBB9_79:                               ;   in Loop: Header=BB9_75 Depth=1
	s_or_b64 exec, exec, s[20:21]
	v_cmp_eq_u32_e32 vcc, v17, v10
	s_and_b64 s[22:23], vcc, s[16:17]
	s_and_saveexec_b64 s[20:21], s[22:23]
	s_cbranch_execz .LBB9_74
; %bb.80:                               ;   in Loop: Header=BB9_75 Depth=1
	s_mov_b64 s[24:25], exec
	v_mbcnt_lo_u32_b32 v10, s24, 0
	v_mbcnt_hi_u32_b32 v10, s25, v10
	v_cmp_eq_u32_e32 vcc, 0, v10
                                        ; implicit-def: $vgpr11
	s_and_saveexec_b64 s[22:23], vcc
	s_cbranch_execz .LBB9_73
; %bb.81:                               ;   in Loop: Header=BB9_75 Depth=1
	s_bcnt1_i32_b64 s24, s[24:25]
	v_mov_b32_e32 v11, s24
	ds_add_rtn_u32 v11, v6, v11 offset:16704
	s_branch .LBB9_73
.LBB9_82:
	s_or_b64 exec, exec, s[4:5]
	s_mov_b64 s[4:5], 0
.LBB9_83:
	s_andn2_b64 vcc, exec, s[4:5]
	s_cbranch_vccnz .LBB9_138
; %bb.84:
	s_and_b32 s4, s46, 15
	s_sub_i32 s16, 16, s4
	s_mov_b32 s5, 0
	s_lshr_b32 s16, s16, 2
	s_cmp_lg_u64 s[4:5], 0
	s_cselect_b32 s4, s16, 0
	s_min_i32 s16, s4, s62
	s_sub_i32 s4, s62, s16
	s_ashr_i32 s5, s4, 31
	s_lshr_b32 s5, s5, 30
	s_add_i32 s4, s4, s5
	s_ashr_i32 s30, s4, 2
	v_mov_b32_e32 v10, 0
	s_mov_b64 s[18:19], 0
	s_ashr_i32 s17, s16, 31
	v_cmp_gt_i32_e32 vcc, s30, v4
	s_and_saveexec_b64 s[20:21], vcc
	s_cbranch_execz .LBB9_119
; %bb.85:
	ds_read_b32 v0, v10 offset:16708
	v_lshl_add_u32 v6, v4, 2, s16
	v_mov_b32_e32 v11, 0x4150
	v_mov_b32_e32 v18, v4
	s_waitcnt lgkmcnt(0)
	v_readfirstlane_b32 s4, v0
	s_cmpk_lt_i32 s4, 0x801
	s_cselect_b64 s[22:23], -1, 0
	s_cmpk_gt_i32 s4, 0x800
	s_cselect_b64 s[4:5], -1, 0
	s_add_u32 s31, s52, 4
	s_addc_u32 s36, s53, 0
	s_add_u32 s37, s52, 8
	s_addc_u32 s40, s53, 0
	;; [unrolled: 2-line block ×3, first 2 shown]
	s_lshl_b64 s[24:25], s[16:17], 2
	s_add_u32 s17, s48, s24
	s_addc_u32 s24, s49, s25
	s_add_u32 s17, s17, s50
	s_addc_u32 s24, s24, s51
	v_mov_b32_e32 v0, s24
	v_add_co_u32_e32 v1, vcc, s17, v5
	v_addc_co_u32_e32 v0, vcc, 0, v0, vcc
	v_add_co_u32_e32 v8, vcc, 8, v1
	v_addc_co_u32_e32 v9, vcc, 0, v0, vcc
	s_xor_b64 s[24:25], s[4:5], -1
	s_branch .LBB9_88
.LBB9_86:                               ;   in Loop: Header=BB9_88 Depth=1
	s_or_b64 exec, exec, s[26:27]
	v_ashrrev_i32_e32 v7, 31, v6
	v_lshlrev_b64 v[22:23], 2, v[6:7]
	v_mov_b32_e32 v2, s61
	v_add_co_u32_e32 v22, vcc, s60, v22
	v_addc_co_u32_e32 v23, vcc, v2, v23, vcc
	global_load_dword v2, v[22:23], off
	s_waitcnt lgkmcnt(0)
	v_readfirstlane_b32 s17, v1
	v_add_lshl_u32 v0, s17, v0, 2
	s_waitcnt vmcnt(0)
	ds_write2st64_b32 v0, v2, v3 offset1:32
.LBB9_87:                               ;   in Loop: Header=BB9_88 Depth=1
	s_or_b64 exec, exec, s[4:5]
	v_add_u32_e32 v18, 0x400, v18
	v_add_co_u32_e32 v8, vcc, 0x4000, v8
	v_cmp_le_i32_e64 s[4:5], s30, v18
	v_add_u32_e32 v6, 0x1000, v6
	s_or_b64 s[18:19], s[4:5], s[18:19]
	v_addc_co_u32_e32 v9, vcc, 0, v9, vcc
	s_andn2_b64 exec, exec, s[18:19]
	s_cbranch_execz .LBB9_119
.LBB9_88:                               ; =>This Inner Loop Header: Depth=1
	global_load_dwordx4 v[0:3], v[8:9], off offset:-8
	s_waitcnt vmcnt(0)
	v_cvt_f16_f32_e32 v7, v0
	v_xor_b32_e32 v19, -1, v7
	v_and_b32_e32 v19, 0x7fe0, v19
	v_cmp_gt_i16_e32 vcc, 0, v7
	v_cndmask_b32_e32 v7, v19, v7, vcc
	v_lshrrev_b16_e32 v19, 5, v7
	v_cmp_gt_u32_e32 vcc, v17, v19
	s_and_b64 s[26:27], vcc, s[22:23]
	s_and_saveexec_b64 s[4:5], s[26:27]
	s_cbranch_execz .LBB9_92
; %bb.89:                               ;   in Loop: Header=BB9_88 Depth=1
	s_mov_b64 s[28:29], exec
	v_mbcnt_lo_u32_b32 v7, s28, 0
	v_mbcnt_hi_u32_b32 v21, s29, v7
	v_cmp_eq_u32_e32 vcc, 0, v21
                                        ; implicit-def: $vgpr22
	s_and_saveexec_b64 s[26:27], vcc
	s_cbranch_execz .LBB9_91
; %bb.90:                               ;   in Loop: Header=BB9_88 Depth=1
	s_bcnt1_i32_b64 s17, s[28:29]
	v_mov_b32_e32 v7, s17
	ds_add_rtn_u32 v22, v10, v7 offset:16712
.LBB9_91:                               ;   in Loop: Header=BB9_88 Depth=1
	s_or_b64 exec, exec, s[26:27]
	v_ashrrev_i32_e32 v7, 31, v6
	v_lshlrev_b64 v[24:25], 2, v[6:7]
	v_mov_b32_e32 v7, s53
	v_add_co_u32_e32 v24, vcc, s52, v24
	v_addc_co_u32_e32 v25, vcc, v7, v25, vcc
	global_load_dword v7, v[24:25], off
	s_waitcnt lgkmcnt(0)
	v_readfirstlane_b32 s17, v22
	v_add_u32_e32 v21, s17, v21
	v_lshl_add_u32 v21, v21, 2, v11
	s_waitcnt vmcnt(0)
	ds_write_b32 v21, v7
.LBB9_92:                               ;   in Loop: Header=BB9_88 Depth=1
	s_or_b64 exec, exec, s[4:5]
	v_cmp_eq_u32_e32 vcc, v17, v19
	s_and_b64 s[26:27], vcc, s[24:25]
	s_and_saveexec_b64 s[4:5], s[26:27]
	s_cbranch_execz .LBB9_96
; %bb.93:                               ;   in Loop: Header=BB9_88 Depth=1
	s_mov_b64 s[28:29], exec
	v_mbcnt_lo_u32_b32 v7, s28, 0
	v_mbcnt_hi_u32_b32 v19, s29, v7
	v_cmp_eq_u32_e32 vcc, 0, v19
                                        ; implicit-def: $vgpr21
	s_and_saveexec_b64 s[26:27], vcc
	s_cbranch_execz .LBB9_95
; %bb.94:                               ;   in Loop: Header=BB9_88 Depth=1
	s_bcnt1_i32_b64 s17, s[28:29]
	v_mov_b32_e32 v7, s17
	ds_add_rtn_u32 v21, v10, v7 offset:16704
.LBB9_95:                               ;   in Loop: Header=BB9_88 Depth=1
	s_or_b64 exec, exec, s[26:27]
	v_ashrrev_i32_e32 v7, 31, v6
	v_lshlrev_b64 v[22:23], 2, v[6:7]
	v_mov_b32_e32 v7, s53
	v_add_co_u32_e32 v22, vcc, s52, v22
	v_addc_co_u32_e32 v23, vcc, v7, v23, vcc
	global_load_dword v7, v[22:23], off
	s_waitcnt lgkmcnt(0)
	v_readfirstlane_b32 s17, v21
	v_add_lshl_u32 v19, s17, v19, 2
	s_waitcnt vmcnt(0)
	ds_write2st64_b32 v19, v7, v0 offset1:32
.LBB9_96:                               ;   in Loop: Header=BB9_88 Depth=1
	s_or_b64 exec, exec, s[4:5]
	v_cvt_f16_f32_e32 v0, v1
	v_xor_b32_e32 v7, -1, v0
	v_and_b32_e32 v7, 0x7fe0, v7
	v_cmp_gt_i16_e32 vcc, 0, v0
	v_cndmask_b32_e32 v0, v7, v0, vcc
	v_lshrrev_b16_e32 v0, 5, v0
	v_cmp_gt_u32_e32 vcc, v17, v0
	s_and_b64 s[26:27], vcc, s[22:23]
	s_and_saveexec_b64 s[4:5], s[26:27]
	s_cbranch_execz .LBB9_100
; %bb.97:                               ;   in Loop: Header=BB9_88 Depth=1
	s_mov_b64 s[28:29], exec
	v_mbcnt_lo_u32_b32 v7, s28, 0
	v_mbcnt_hi_u32_b32 v19, s29, v7
	v_cmp_eq_u32_e32 vcc, 0, v19
                                        ; implicit-def: $vgpr21
	s_and_saveexec_b64 s[26:27], vcc
	s_cbranch_execz .LBB9_99
; %bb.98:                               ;   in Loop: Header=BB9_88 Depth=1
	s_bcnt1_i32_b64 s17, s[28:29]
	v_mov_b32_e32 v7, s17
	ds_add_rtn_u32 v21, v10, v7 offset:16712
.LBB9_99:                               ;   in Loop: Header=BB9_88 Depth=1
	s_or_b64 exec, exec, s[26:27]
	v_ashrrev_i32_e32 v7, 31, v6
	v_lshlrev_b64 v[22:23], 2, v[6:7]
	v_mov_b32_e32 v7, s36
	v_add_co_u32_e32 v22, vcc, s31, v22
	v_addc_co_u32_e32 v23, vcc, v7, v23, vcc
	global_load_dword v7, v[22:23], off
	s_waitcnt lgkmcnt(0)
	v_readfirstlane_b32 s17, v21
	v_add_u32_e32 v19, s17, v19
	v_lshl_add_u32 v19, v19, 2, v11
	s_waitcnt vmcnt(0)
	ds_write_b32 v19, v7
.LBB9_100:                              ;   in Loop: Header=BB9_88 Depth=1
	s_or_b64 exec, exec, s[4:5]
	v_cmp_eq_u32_e32 vcc, v17, v0
	s_and_b64 s[26:27], vcc, s[24:25]
	s_and_saveexec_b64 s[4:5], s[26:27]
	s_cbranch_execz .LBB9_104
; %bb.101:                              ;   in Loop: Header=BB9_88 Depth=1
	s_mov_b64 s[28:29], exec
	v_mbcnt_lo_u32_b32 v0, s28, 0
	v_mbcnt_hi_u32_b32 v0, s29, v0
	v_cmp_eq_u32_e32 vcc, 0, v0
                                        ; implicit-def: $vgpr19
	s_and_saveexec_b64 s[26:27], vcc
	s_cbranch_execz .LBB9_103
; %bb.102:                              ;   in Loop: Header=BB9_88 Depth=1
	s_bcnt1_i32_b64 s17, s[28:29]
	v_mov_b32_e32 v7, s17
	ds_add_rtn_u32 v19, v10, v7 offset:16704
.LBB9_103:                              ;   in Loop: Header=BB9_88 Depth=1
	s_or_b64 exec, exec, s[26:27]
	v_ashrrev_i32_e32 v7, 31, v6
	v_lshlrev_b64 v[22:23], 2, v[6:7]
	v_mov_b32_e32 v7, s36
	v_add_co_u32_e32 v22, vcc, s31, v22
	v_addc_co_u32_e32 v23, vcc, v7, v23, vcc
	global_load_dword v7, v[22:23], off
	s_waitcnt lgkmcnt(0)
	v_readfirstlane_b32 s17, v19
	v_add_lshl_u32 v0, s17, v0, 2
	s_waitcnt vmcnt(0)
	ds_write2st64_b32 v0, v7, v1 offset1:32
.LBB9_104:                              ;   in Loop: Header=BB9_88 Depth=1
	s_or_b64 exec, exec, s[4:5]
	v_cvt_f16_f32_e32 v0, v2
	v_xor_b32_e32 v1, -1, v0
	v_and_b32_e32 v1, 0x7fe0, v1
	v_cmp_gt_i16_e32 vcc, 0, v0
	v_cndmask_b32_e32 v0, v1, v0, vcc
	v_lshrrev_b16_e32 v0, 5, v0
	v_cmp_gt_u32_e32 vcc, v17, v0
	s_and_b64 s[26:27], vcc, s[22:23]
	s_and_saveexec_b64 s[4:5], s[26:27]
	s_cbranch_execz .LBB9_108
; %bb.105:                              ;   in Loop: Header=BB9_88 Depth=1
	s_mov_b64 s[28:29], exec
	v_mbcnt_lo_u32_b32 v1, s28, 0
	v_mbcnt_hi_u32_b32 v1, s29, v1
	v_cmp_eq_u32_e32 vcc, 0, v1
                                        ; implicit-def: $vgpr19
	s_and_saveexec_b64 s[26:27], vcc
	s_cbranch_execz .LBB9_107
; %bb.106:                              ;   in Loop: Header=BB9_88 Depth=1
	s_bcnt1_i32_b64 s17, s[28:29]
	v_mov_b32_e32 v7, s17
	ds_add_rtn_u32 v19, v10, v7 offset:16712
.LBB9_107:                              ;   in Loop: Header=BB9_88 Depth=1
	s_or_b64 exec, exec, s[26:27]
	v_ashrrev_i32_e32 v7, 31, v6
	v_lshlrev_b64 v[22:23], 2, v[6:7]
	v_mov_b32_e32 v7, s40
	v_add_co_u32_e32 v22, vcc, s37, v22
	v_addc_co_u32_e32 v23, vcc, v7, v23, vcc
	global_load_dword v7, v[22:23], off
	s_waitcnt lgkmcnt(0)
	v_readfirstlane_b32 s17, v19
	v_add_u32_e32 v1, s17, v1
	v_lshl_add_u32 v1, v1, 2, v11
	s_waitcnt vmcnt(0)
	ds_write_b32 v1, v7
.LBB9_108:                              ;   in Loop: Header=BB9_88 Depth=1
	s_or_b64 exec, exec, s[4:5]
	v_cmp_eq_u32_e32 vcc, v17, v0
	s_and_b64 s[26:27], vcc, s[24:25]
	s_and_saveexec_b64 s[4:5], s[26:27]
	s_cbranch_execz .LBB9_112
; %bb.109:                              ;   in Loop: Header=BB9_88 Depth=1
	s_mov_b64 s[28:29], exec
	v_mbcnt_lo_u32_b32 v0, s28, 0
	v_mbcnt_hi_u32_b32 v0, s29, v0
	v_cmp_eq_u32_e32 vcc, 0, v0
                                        ; implicit-def: $vgpr1
	s_and_saveexec_b64 s[26:27], vcc
	s_cbranch_execz .LBB9_111
; %bb.110:                              ;   in Loop: Header=BB9_88 Depth=1
	s_bcnt1_i32_b64 s17, s[28:29]
	v_mov_b32_e32 v1, s17
	ds_add_rtn_u32 v1, v10, v1 offset:16704
.LBB9_111:                              ;   in Loop: Header=BB9_88 Depth=1
	s_or_b64 exec, exec, s[26:27]
	v_ashrrev_i32_e32 v7, 31, v6
	v_lshlrev_b64 v[22:23], 2, v[6:7]
	v_mov_b32_e32 v7, s40
	v_add_co_u32_e32 v22, vcc, s37, v22
	v_addc_co_u32_e32 v23, vcc, v7, v23, vcc
	global_load_dword v7, v[22:23], off
	s_waitcnt lgkmcnt(0)
	v_readfirstlane_b32 s17, v1
	v_add_lshl_u32 v0, s17, v0, 2
	s_waitcnt vmcnt(0)
	ds_write2st64_b32 v0, v7, v2 offset1:32
.LBB9_112:                              ;   in Loop: Header=BB9_88 Depth=1
	s_or_b64 exec, exec, s[4:5]
	v_cvt_f16_f32_e32 v0, v3
	v_xor_b32_e32 v1, -1, v0
	v_and_b32_e32 v1, 0x7fe0, v1
	v_cmp_gt_i16_e32 vcc, 0, v0
	v_cndmask_b32_e32 v0, v1, v0, vcc
	v_lshrrev_b16_e32 v0, 5, v0
	v_cmp_gt_u32_e32 vcc, v17, v0
	s_and_b64 s[26:27], vcc, s[22:23]
	s_and_saveexec_b64 s[4:5], s[26:27]
	s_cbranch_execz .LBB9_116
; %bb.113:                              ;   in Loop: Header=BB9_88 Depth=1
	s_mov_b64 s[28:29], exec
	v_mbcnt_lo_u32_b32 v1, s28, 0
	v_mbcnt_hi_u32_b32 v1, s29, v1
	v_cmp_eq_u32_e32 vcc, 0, v1
                                        ; implicit-def: $vgpr2
	s_and_saveexec_b64 s[26:27], vcc
	s_cbranch_execz .LBB9_115
; %bb.114:                              ;   in Loop: Header=BB9_88 Depth=1
	s_bcnt1_i32_b64 s17, s[28:29]
	v_mov_b32_e32 v2, s17
	ds_add_rtn_u32 v2, v10, v2 offset:16712
.LBB9_115:                              ;   in Loop: Header=BB9_88 Depth=1
	s_or_b64 exec, exec, s[26:27]
	v_ashrrev_i32_e32 v7, 31, v6
	v_lshlrev_b64 v[22:23], 2, v[6:7]
	v_mov_b32_e32 v7, s61
	v_add_co_u32_e32 v22, vcc, s60, v22
	v_addc_co_u32_e32 v23, vcc, v7, v23, vcc
	global_load_dword v7, v[22:23], off
	s_waitcnt lgkmcnt(0)
	v_readfirstlane_b32 s17, v2
	v_add_u32_e32 v1, s17, v1
	v_lshl_add_u32 v1, v1, 2, v11
	s_waitcnt vmcnt(0)
	ds_write_b32 v1, v7
.LBB9_116:                              ;   in Loop: Header=BB9_88 Depth=1
	s_or_b64 exec, exec, s[4:5]
	v_cmp_eq_u32_e32 vcc, v17, v0
	s_and_b64 s[26:27], vcc, s[22:23]
	s_and_saveexec_b64 s[4:5], s[26:27]
	s_cbranch_execz .LBB9_87
; %bb.117:                              ;   in Loop: Header=BB9_88 Depth=1
	s_mov_b64 s[28:29], exec
	v_mbcnt_lo_u32_b32 v0, s28, 0
	v_mbcnt_hi_u32_b32 v0, s29, v0
	v_cmp_eq_u32_e32 vcc, 0, v0
                                        ; implicit-def: $vgpr1
	s_and_saveexec_b64 s[26:27], vcc
	s_cbranch_execz .LBB9_86
; %bb.118:                              ;   in Loop: Header=BB9_88 Depth=1
	s_bcnt1_i32_b64 s17, s[28:29]
	v_mov_b32_e32 v1, s17
	ds_add_rtn_u32 v1, v10, v1 offset:16704
	s_branch .LBB9_86
.LBB9_119:
	s_or_b64 exec, exec, s[20:21]
	v_cmp_gt_u32_e32 vcc, s16, v4
	s_and_saveexec_b64 s[4:5], vcc
	s_cbranch_execz .LBB9_128
; %bb.120:
	global_load_dword v0, v20, s[46:47]
	v_mov_b32_e32 v1, 0
	ds_read_b32 v1, v1 offset:16708
	s_waitcnt lgkmcnt(0)
	v_readfirstlane_b32 s17, v1
	s_cmpk_lt_i32 s17, 0x801
	s_cselect_b64 s[18:19], -1, 0
	s_waitcnt vmcnt(0)
	v_cvt_f16_f32_e32 v2, v0
	v_xor_b32_e32 v1, -1, v2
	v_and_b32_e32 v1, 0x7fe0, v1
	v_cmp_gt_i16_e32 vcc, 0, v2
	v_cndmask_b32_e32 v1, v1, v2, vcc
	v_lshrrev_b16_e32 v1, 5, v1
	v_cmp_gt_u32_e32 vcc, v17, v1
	s_and_b64 s[22:23], vcc, s[18:19]
	s_and_saveexec_b64 s[20:21], s[22:23]
	s_cbranch_execz .LBB9_124
; %bb.121:
	s_mov_b64 s[24:25], exec
	v_mbcnt_lo_u32_b32 v2, s24, 0
	v_mbcnt_hi_u32_b32 v2, s25, v2
	v_cmp_eq_u32_e32 vcc, 0, v2
                                        ; implicit-def: $vgpr3
	s_and_saveexec_b64 s[22:23], vcc
	s_cbranch_execz .LBB9_123
; %bb.122:
	s_bcnt1_i32_b64 s17, s[24:25]
	v_mov_b32_e32 v3, 0
	v_mov_b32_e32 v6, s17
	ds_add_rtn_u32 v3, v3, v6 offset:16712
.LBB9_123:
	s_or_b64 exec, exec, s[22:23]
	global_load_dword v6, v20, s[52:53]
	s_waitcnt lgkmcnt(0)
	v_readfirstlane_b32 s17, v3
	v_add_u32_e32 v2, s17, v2
	v_mov_b32_e32 v3, 0x4150
	v_lshl_add_u32 v2, v2, 2, v3
	s_waitcnt vmcnt(0)
	ds_write_b32 v2, v6
.LBB9_124:
	s_or_b64 exec, exec, s[20:21]
	v_cmp_eq_u32_e32 vcc, v17, v1
	s_and_b64 s[18:19], vcc, s[18:19]
	s_and_b64 exec, exec, s[18:19]
	s_cbranch_execz .LBB9_128
; %bb.125:
	s_mov_b64 s[20:21], exec
	v_mbcnt_lo_u32_b32 v1, s20, 0
	v_mbcnt_hi_u32_b32 v1, s21, v1
	v_cmp_eq_u32_e32 vcc, 0, v1
                                        ; implicit-def: $vgpr2
	s_and_saveexec_b64 s[18:19], vcc
	s_cbranch_execz .LBB9_127
; %bb.126:
	s_bcnt1_i32_b64 s17, s[20:21]
	v_mov_b32_e32 v2, 0
	v_mov_b32_e32 v3, s17
	ds_add_rtn_u32 v2, v2, v3 offset:16704
.LBB9_127:
	s_or_b64 exec, exec, s[18:19]
	global_load_dword v3, v20, s[52:53]
	s_waitcnt lgkmcnt(0)
	v_readfirstlane_b32 s17, v2
	v_add_lshl_u32 v1, s17, v1, 2
	s_waitcnt vmcnt(0)
	ds_write2st64_b32 v1, v3, v0 offset1:32
.LBB9_128:
	s_or_b64 exec, exec, s[4:5]
	s_lshl_b32 s4, s30, 2
	s_add_i32 s4, s4, s16
	v_add_u32_e32 v0, s4, v4
	v_cmp_gt_i32_e32 vcc, s62, v0
	s_and_saveexec_b64 s[4:5], vcc
	s_cbranch_execz .LBB9_137
; %bb.129:
	v_ashrrev_i32_e32 v1, 31, v0
	v_lshlrev_b64 v[0:1], 2, v[0:1]
	v_mov_b32_e32 v3, s47
	v_add_co_u32_e32 v2, vcc, s46, v0
	v_addc_co_u32_e32 v3, vcc, v3, v1, vcc
	global_load_dword v2, v[2:3], off
	v_mov_b32_e32 v3, 0
	ds_read_b32 v3, v3 offset:16708
	s_waitcnt lgkmcnt(0)
	v_readfirstlane_b32 s16, v3
	s_cmpk_lt_i32 s16, 0x801
	s_cselect_b64 s[16:17], -1, 0
	s_waitcnt vmcnt(0)
	v_cvt_f16_f32_e32 v6, v2
	v_xor_b32_e32 v3, -1, v6
	v_and_b32_e32 v3, 0x7fe0, v3
	v_cmp_gt_i16_e32 vcc, 0, v6
	v_cndmask_b32_e32 v3, v3, v6, vcc
	v_lshrrev_b16_e32 v3, 5, v3
	v_cmp_gt_u32_e32 vcc, v17, v3
	s_and_b64 s[20:21], vcc, s[16:17]
	s_and_saveexec_b64 s[18:19], s[20:21]
	s_cbranch_execz .LBB9_133
; %bb.130:
	s_mov_b64 s[22:23], exec
	v_mbcnt_lo_u32_b32 v6, s22, 0
	v_mbcnt_hi_u32_b32 v6, s23, v6
	v_cmp_eq_u32_e32 vcc, 0, v6
                                        ; implicit-def: $vgpr7
	s_and_saveexec_b64 s[20:21], vcc
	s_cbranch_execz .LBB9_132
; %bb.131:
	s_bcnt1_i32_b64 s22, s[22:23]
	v_mov_b32_e32 v7, 0
	v_mov_b32_e32 v8, s22
	ds_add_rtn_u32 v7, v7, v8 offset:16712
.LBB9_132:
	s_or_b64 exec, exec, s[20:21]
	v_mov_b32_e32 v9, s53
	v_add_co_u32_e32 v8, vcc, s52, v0
	v_addc_co_u32_e32 v9, vcc, v9, v1, vcc
	global_load_dword v8, v[8:9], off
	s_waitcnt lgkmcnt(0)
	v_readfirstlane_b32 s20, v7
	v_add_u32_e32 v6, s20, v6
	v_mov_b32_e32 v7, 0x4150
	v_lshl_add_u32 v6, v6, 2, v7
	s_waitcnt vmcnt(0)
	ds_write_b32 v6, v8
.LBB9_133:
	s_or_b64 exec, exec, s[18:19]
	v_cmp_eq_u32_e32 vcc, v17, v3
	s_and_b64 s[16:17], vcc, s[16:17]
	s_and_b64 exec, exec, s[16:17]
	s_cbranch_execz .LBB9_137
; %bb.134:
	s_mov_b64 s[18:19], exec
	v_mbcnt_lo_u32_b32 v3, s18, 0
	v_mbcnt_hi_u32_b32 v3, s19, v3
	v_cmp_eq_u32_e32 vcc, 0, v3
                                        ; implicit-def: $vgpr6
	s_and_saveexec_b64 s[16:17], vcc
	s_cbranch_execz .LBB9_136
; %bb.135:
	s_bcnt1_i32_b64 s18, s[18:19]
	v_mov_b32_e32 v6, 0
	v_mov_b32_e32 v7, s18
	ds_add_rtn_u32 v6, v6, v7 offset:16704
.LBB9_136:
	s_or_b64 exec, exec, s[16:17]
	v_mov_b32_e32 v7, s53
	v_add_co_u32_e32 v0, vcc, s52, v0
	v_addc_co_u32_e32 v1, vcc, v7, v1, vcc
	global_load_dword v0, v[0:1], off
	s_waitcnt lgkmcnt(0)
	v_readfirstlane_b32 s16, v6
	v_add_lshl_u32 v1, s16, v3, 2
	s_waitcnt vmcnt(0)
	ds_write2st64_b32 v1, v0, v2 offset1:32
.LBB9_137:
	s_or_b64 exec, exec, s[4:5]
.LBB9_138:
	v_mov_b32_e32 v0, 0
	s_waitcnt lgkmcnt(0)
	s_barrier
	ds_read_b32 v1, v0 offset:16708
	s_movk_i32 s4, 0x801
	s_waitcnt lgkmcnt(0)
	v_cmp_gt_i32_e32 vcc, s4, v1
	s_mov_b64 s[4:5], 0
	s_cbranch_vccnz .LBB9_257
; %bb.139:
	s_and_b64 vcc, exec, s[10:11]
	s_mov_b64 s[4:5], -1
	ds_write_b32 v20, v0 offset:4224
	ds_write_b32 v14, v0 offset:4096
	s_waitcnt lgkmcnt(0)
	s_barrier
	s_cbranch_vccnz .LBB9_144
; %bb.140:
	v_cmp_gt_i32_e32 vcc, s62, v4
	s_and_saveexec_b64 s[4:5], vcc
	s_cbranch_execz .LBB9_143
; %bb.141:
	v_mul_lo_u32 v0, v4, s41
	s_lshl_b32 s18, s41, 10
	s_mov_b64 s[16:17], 0
	v_mov_b32_e32 v2, s47
	v_mov_b32_e32 v3, 1
	;; [unrolled: 1-line block ×3, first 2 shown]
.LBB9_142:                              ; =>This Inner Loop Header: Depth=1
	v_ashrrev_i32_e32 v1, 31, v0
	v_lshlrev_b64 v[8:9], 2, v[0:1]
	v_add_co_u32_e32 v8, vcc, s46, v8
	v_addc_co_u32_e32 v9, vcc, v2, v9, vcc
	global_load_dword v1, v[8:9], off
	v_add_u32_e32 v6, 0x400, v6
	v_add_u32_e32 v0, s18, v0
	s_waitcnt vmcnt(0)
	v_not_b32_e32 v7, v1
	v_and_b32_e32 v7, 0x7fe00000, v7
	v_cmp_gt_i32_e32 vcc, 0, v1
	v_cndmask_b32_e32 v1, v7, v1, vcc
	v_lshrrev_b32_e32 v1, 19, v1
	v_and_b32_e32 v1, 0x1ffc, v1
	ds_add_u32 v1, v3 offset:4224
	v_cmp_le_i32_e32 vcc, s62, v6
	s_or_b64 s[16:17], vcc, s[16:17]
	s_andn2_b64 exec, exec, s[16:17]
	s_cbranch_execnz .LBB9_142
.LBB9_143:
	s_or_b64 exec, exec, s[4:5]
	s_mov_b64 s[4:5], 0
.LBB9_144:
	s_andn2_b64 vcc, exec, s[4:5]
	s_cbranch_vccnz .LBB9_153
; %bb.145:
	s_and_b32 s4, s46, 15
	s_sub_i32 s16, 16, s4
	s_mov_b32 s5, 0
	s_lshr_b32 s16, s16, 2
	s_cmp_lg_u64 s[4:5], 0
	s_cselect_b32 s4, s16, 0
	s_min_i32 s24, s4, s62
	s_sub_i32 s4, s62, s24
	s_ashr_i32 s5, s4, 31
	s_lshr_b32 s5, s5, 30
	s_add_i32 s4, s4, s5
	s_ashr_i32 s30, s4, 2
	s_mov_b64 s[26:27], 0
	s_ashr_i32 s25, s24, 31
	v_cmp_gt_i32_e32 vcc, s30, v4
	s_and_saveexec_b64 s[28:29], vcc
	s_cbranch_execz .LBB9_148
; %bb.146:
	s_lshl_b64 s[4:5], s[24:25], 2
	s_add_u32 s4, s48, s4
	s_addc_u32 s5, s49, s5
	s_add_u32 s4, s4, s50
	s_addc_u32 s5, s5, s51
	v_mov_b32_e32 v0, s5
	v_add_co_u32_e32 v1, vcc, s4, v5
	v_addc_co_u32_e32 v2, vcc, 0, v0, vcc
	v_add_co_u32_e32 v0, vcc, 8, v1
	v_addc_co_u32_e32 v1, vcc, 0, v2, vcc
	v_mov_b32_e32 v2, 1
	v_mov_b32_e32 v3, v4
.LBB9_147:                              ; =>This Inner Loop Header: Depth=1
	global_load_dwordx4 v[6:9], v[0:1], off offset:-8
	v_add_u32_e32 v3, 0x400, v3
	v_add_co_u32_e32 v0, vcc, 0x4000, v0
	v_cmp_le_i32_e64 s[4:5], s30, v3
	s_or_b64 s[26:27], s[4:5], s[26:27]
	v_addc_co_u32_e32 v1, vcc, 0, v1, vcc
	s_waitcnt vmcnt(0)
	v_not_b32_e32 v10, v6
	v_not_b32_e32 v11, v7
	v_not_b32_e32 v17, v8
	v_not_b32_e32 v18, v9
	v_and_b32_e32 v10, 0x7fe00000, v10
	v_cmp_gt_i32_e64 s[22:23], 0, v6
	v_and_b32_e32 v11, 0x7fe00000, v11
	v_cmp_gt_i32_e64 s[16:17], 0, v7
	;; [unrolled: 2-line block ×4, first 2 shown]
	v_cndmask_b32_e64 v6, v10, v6, s[22:23]
	v_cndmask_b32_e64 v7, v11, v7, s[16:17]
	;; [unrolled: 1-line block ×4, first 2 shown]
	v_lshrrev_b32_e32 v6, 19, v6
	v_lshrrev_b32_e32 v7, 19, v7
	;; [unrolled: 1-line block ×4, first 2 shown]
	v_and_b32_e32 v6, 0x1ffc, v6
	v_and_b32_e32 v7, 0x1ffc, v7
	v_and_b32_e32 v8, 0x1ffc, v8
	v_and_b32_e32 v9, 0x1ffc, v9
	ds_add_u32 v6, v2 offset:4224
	ds_add_u32 v7, v2 offset:4224
	;; [unrolled: 1-line block ×4, first 2 shown]
	s_andn2_b64 exec, exec, s[26:27]
	s_cbranch_execnz .LBB9_147
.LBB9_148:
	s_or_b64 exec, exec, s[28:29]
	v_cmp_gt_u32_e32 vcc, s24, v4
	s_and_saveexec_b64 s[4:5], vcc
	s_cbranch_execz .LBB9_150
; %bb.149:
	global_load_dword v0, v20, s[46:47]
	s_waitcnt vmcnt(0)
	v_not_b32_e32 v1, v0
	v_and_b32_e32 v1, 0x7fe00000, v1
	v_cmp_gt_i32_e32 vcc, 0, v0
	v_cndmask_b32_e32 v0, v1, v0, vcc
	v_lshrrev_b32_e32 v0, 19, v0
	v_and_b32_e32 v0, 0x1ffc, v0
	v_mov_b32_e32 v1, 1
	ds_add_u32 v0, v1 offset:4224
.LBB9_150:
	s_or_b64 exec, exec, s[4:5]
	s_lshl_b32 s4, s30, 2
	s_add_i32 s4, s4, s24
	v_add_u32_e32 v0, s4, v4
	v_cmp_gt_i32_e32 vcc, s62, v0
	s_and_saveexec_b64 s[4:5], vcc
	s_cbranch_execz .LBB9_152
; %bb.151:
	v_ashrrev_i32_e32 v1, 31, v0
	v_lshlrev_b64 v[0:1], 2, v[0:1]
	v_mov_b32_e32 v2, s47
	v_add_co_u32_e32 v0, vcc, s46, v0
	v_addc_co_u32_e32 v1, vcc, v2, v1, vcc
	global_load_dword v0, v[0:1], off
	s_waitcnt vmcnt(0)
	v_not_b32_e32 v1, v0
	v_and_b32_e32 v1, 0x7fe00000, v1
	v_cmp_gt_i32_e32 vcc, 0, v0
	v_cndmask_b32_e32 v0, v1, v0, vcc
	v_lshrrev_b32_e32 v0, 19, v0
	v_and_b32_e32 v0, 0x1ffc, v0
	v_mov_b32_e32 v1, 1
	ds_add_u32 v0, v1 offset:4224
.LBB9_152:
	s_or_b64 exec, exec, s[4:5]
.LBB9_153:
	s_waitcnt lgkmcnt(0)
	s_barrier
	v_mov_b32_e32 v1, 0
	ds_read_b32 v2, v20 offset:4224
	ds_read_b32 v0, v1 offset:16712
	s_waitcnt lgkmcnt(0)
	s_barrier
	ds_write_b32 v13, v2
	s_waitcnt lgkmcnt(0)
	s_barrier
	s_and_saveexec_b64 s[4:5], s[14:15]
	s_cbranch_execz .LBB9_155
; %bb.154:
	ds_read2_b32 v[6:7], v12 offset1:1
	ds_read2_b32 v[8:9], v12 offset0:2 offset1:3
	ds_read2_b32 v[10:11], v12 offset0:4 offset1:5
	;; [unrolled: 1-line block ×7, first 2 shown]
	s_waitcnt lgkmcnt(7)
	v_add_u32_e32 v3, v7, v6
	s_waitcnt lgkmcnt(6)
	v_add3_u32 v3, v3, v8, v9
	s_waitcnt lgkmcnt(5)
	v_add3_u32 v3, v3, v10, v11
	;; [unrolled: 2-line block ×5, first 2 shown]
	v_mbcnt_lo_u32_b32 v17, -1, 0
	s_waitcnt lgkmcnt(1)
	v_add3_u32 v3, v3, v26, v27
	v_mbcnt_hi_u32_b32 v17, -1, v17
	s_waitcnt lgkmcnt(0)
	v_add3_u32 v3, v3, v28, v29
	v_and_b32_e32 v21, 15, v17
	v_cmp_ne_u32_e32 vcc, 0, v21
	v_mov_b32_dpp v30, v3 row_shr:1 row_mask:0xf bank_mask:0xf
	v_cndmask_b32_e32 v30, 0, v30, vcc
	v_add_u32_e32 v3, v30, v3
	v_cmp_lt_u32_e32 vcc, 1, v21
	s_nop 0
	v_mov_b32_dpp v30, v3 row_shr:2 row_mask:0xf bank_mask:0xf
	v_cndmask_b32_e32 v30, 0, v30, vcc
	v_add_u32_e32 v3, v3, v30
	v_cmp_lt_u32_e32 vcc, 3, v21
	s_nop 0
	;; [unrolled: 5-line block ×3, first 2 shown]
	v_mov_b32_dpp v30, v3 row_shr:8 row_mask:0xf bank_mask:0xf
	v_cndmask_b32_e32 v21, 0, v30, vcc
	v_add_u32_e32 v3, v3, v21
	v_bfe_i32 v30, v17, 4, 1
	v_cmp_lt_u32_e32 vcc, 31, v17
	v_mov_b32_dpp v21, v3 row_bcast:15 row_mask:0xf bank_mask:0xf
	v_and_b32_e32 v21, v30, v21
	v_add_u32_e32 v3, v3, v21
	v_and_b32_e32 v30, 64, v17
	s_nop 0
	v_mov_b32_dpp v21, v3 row_bcast:31 row_mask:0xf bank_mask:0xf
	v_cndmask_b32_e32 v21, 0, v21, vcc
	v_add_u32_e32 v3, v3, v21
	v_add_u32_e32 v21, -1, v17
	v_cmp_lt_i32_e32 vcc, v21, v30
	v_cndmask_b32_e32 v17, v21, v17, vcc
	v_lshlrev_b32_e32 v17, 2, v17
	ds_bpermute_b32 v3, v17, v3
	s_waitcnt lgkmcnt(0)
	v_add_u32_e32 v3, v3, v6
	v_cndmask_b32_e64 v2, v3, v2, s[2:3]
	v_add_u32_e32 v3, v2, v7
	ds_write2_b32 v12, v2, v3 offset1:1
	v_add_u32_e32 v2, v3, v8
	v_add_u32_e32 v3, v2, v9
	ds_write2_b32 v12, v2, v3 offset0:2 offset1:3
	v_add_u32_e32 v2, v3, v10
	v_add_u32_e32 v3, v2, v11
	ds_write2_b32 v12, v2, v3 offset0:4 offset1:5
	;; [unrolled: 3-line block ×7, first 2 shown]
.LBB9_155:
	s_or_b64 exec, exec, s[4:5]
	s_waitcnt lgkmcnt(0)
	s_barrier
	s_and_saveexec_b64 s[4:5], s[0:1]
	s_cbranch_execz .LBB9_157
; %bb.156:
	ds_read_b32 v1, v15
.LBB9_157:
	s_or_b64 exec, exec, s[4:5]
	v_mov_b32_e32 v2, 0
	ds_read_b32 v3, v2 offset:4216
	s_waitcnt lgkmcnt(1)
	v_add_u32_e32 v1, v1, v0
	v_cmp_gt_i32_e32 vcc, s42, v1
	ds_write_b32 v20, v1 offset:4224
	s_waitcnt lgkmcnt(0)
	v_add_u32_e32 v0, v3, v0
	s_barrier
	s_and_saveexec_b64 s[4:5], vcc
	s_cbranch_execz .LBB9_163
; %bb.158:
	v_mov_b32_e32 v3, v0
	s_and_saveexec_b64 s[16:17], s[34:35]
	s_cbranch_execz .LBB9_160
; %bb.159:
	ds_read_b32 v3, v14 offset:4
.LBB9_160:
	s_or_b64 exec, exec, s[16:17]
	s_waitcnt lgkmcnt(0)
	v_cmp_le_i32_e32 vcc, s42, v3
	v_mov_b32_e32 v2, 0
	s_and_saveexec_b64 s[16:17], vcc
	s_cbranch_execz .LBB9_162
; %bb.161:
	s_movk_i32 s18, 0x4000
	v_sub_u32_e32 v1, v3, v1
	v_add_u32_e64 v2, s18, 0
	ds_write2_b32 v2, v1, v4 offset0:81 offset1:83
	v_mov_b32_e32 v2, 1
.LBB9_162:
	s_or_b64 exec, exec, s[16:17]
.LBB9_163:
	s_or_b64 exec, exec, s[4:5]
	v_or_b32_dpp v1, v2, v2 row_shl:1 row_mask:0xf bank_mask:0xf bound_ctrl:1
	s_bitcmp1_b32 exec_hi, 0
	s_nop 0
	v_or_b32_dpp v1, v1, v1 row_shl:2 row_mask:0xf bank_mask:0xf bound_ctrl:1
	s_nop 1
	v_or_b32_dpp v1, v1, v1 row_shl:4 row_mask:0xf bank_mask:0xf bound_ctrl:1
	;; [unrolled: 2-line block ×3, first 2 shown]
	s_nop 1
	v_mov_b32_dpp v2, v1 wave_shl:1 row_mask:0xf bank_mask:0xf bound_ctrl:1
	s_nop 1
	v_or_b32_dpp v1, v2, v1 row_mirror row_mask:0xf bank_mask:0xf bound_ctrl:1
	v_readlane_b32 s4, v1, 32
	s_cselect_b32 s4, s4, 0
	v_readlane_b32 s5, v1, 0
	s_or_b32 s18, s4, s5
	v_cndmask_b32_e64 v1, 0, 1, s[56:57]
	v_cmp_ne_u32_e64 s[4:5], 1, v1
	s_andn2_b64 vcc, exec, s[56:57]
	v_mov_b32_e32 v1, s18
	s_cbranch_vccnz .LBB9_170
; %bb.164:
	v_mbcnt_lo_u32_b32 v1, -1, 0
	v_mbcnt_hi_u32_b32 v1, -1, v1
	v_or_b32_e32 v2, v1, v16
	v_cmp_eq_u32_e32 vcc, 0, v2
	s_and_saveexec_b64 s[16:17], vcc
	s_cbranch_execz .LBB9_166
; %bb.165:
	v_mov_b32_e32 v2, 0
	v_mov_b32_e32 v3, s18
	ds_write_b32 v2, v3 offset:16448
.LBB9_166:
	s_or_b64 exec, exec, s[16:17]
	v_cmp_eq_u32_e32 vcc, 0, v1
	s_and_b64 s[20:21], s[8:9], vcc
	s_waitcnt lgkmcnt(0)
	s_barrier
	s_and_saveexec_b64 s[16:17], s[20:21]
	s_cbranch_execz .LBB9_169
; %bb.167:
	v_mbcnt_lo_u32_b32 v1, exec_lo, 0
	v_mbcnt_hi_u32_b32 v1, exec_hi, v1
	v_cmp_eq_u32_e32 vcc, 0, v1
	s_and_b64 exec, exec, vcc
	s_cbranch_execz .LBB9_169
; %bb.168:
	v_mov_b32_e32 v1, 0
	v_mov_b32_e32 v2, s18
	ds_or_b32 v1, v2 offset:16448
.LBB9_169:
	s_or_b64 exec, exec, s[16:17]
	v_mov_b32_e32 v1, 0
	s_waitcnt lgkmcnt(0)
	s_barrier
	ds_read_b32 v1, v1 offset:16448
	s_waitcnt lgkmcnt(0)
	s_barrier
.LBB9_170:
	v_cmp_eq_u32_e32 vcc, 0, v1
	s_cbranch_vccz .LBB9_188
; %bb.171:
	ds_read_b32 v1, v14 offset:4096
	s_waitcnt lgkmcnt(0)
	s_barrier
	ds_write_b32 v13, v1
	s_waitcnt lgkmcnt(0)
	s_barrier
	s_and_saveexec_b64 s[16:17], s[14:15]
	s_cbranch_execz .LBB9_173
; %bb.172:
	ds_read2_b32 v[2:3], v12 offset1:1
	ds_read2_b32 v[6:7], v12 offset0:2 offset1:3
	ds_read2_b32 v[8:9], v12 offset0:4 offset1:5
	;; [unrolled: 1-line block ×7, first 2 shown]
	s_waitcnt lgkmcnt(7)
	v_add_u32_e32 v17, v3, v2
	s_waitcnt lgkmcnt(6)
	v_add3_u32 v17, v17, v6, v7
	s_waitcnt lgkmcnt(5)
	v_add3_u32 v17, v17, v8, v9
	;; [unrolled: 2-line block ×5, first 2 shown]
	v_mbcnt_lo_u32_b32 v21, -1, 0
	s_waitcnt lgkmcnt(1)
	v_add3_u32 v17, v17, v24, v25
	v_mbcnt_hi_u32_b32 v21, -1, v21
	s_waitcnt lgkmcnt(0)
	v_add3_u32 v17, v17, v26, v27
	v_and_b32_e32 v28, 15, v21
	v_cmp_ne_u32_e32 vcc, 0, v28
	v_mov_b32_dpp v29, v17 row_shr:1 row_mask:0xf bank_mask:0xf
	v_cndmask_b32_e32 v29, 0, v29, vcc
	v_add_u32_e32 v17, v29, v17
	v_cmp_lt_u32_e32 vcc, 1, v28
	s_nop 0
	v_mov_b32_dpp v29, v17 row_shr:2 row_mask:0xf bank_mask:0xf
	v_cndmask_b32_e32 v29, 0, v29, vcc
	v_add_u32_e32 v17, v17, v29
	v_cmp_lt_u32_e32 vcc, 3, v28
	s_nop 0
	;; [unrolled: 5-line block ×3, first 2 shown]
	v_mov_b32_dpp v29, v17 row_shr:8 row_mask:0xf bank_mask:0xf
	v_cndmask_b32_e32 v28, 0, v29, vcc
	v_add_u32_e32 v17, v17, v28
	v_bfe_i32 v29, v21, 4, 1
	v_cmp_lt_u32_e32 vcc, 31, v21
	v_mov_b32_dpp v28, v17 row_bcast:15 row_mask:0xf bank_mask:0xf
	v_and_b32_e32 v28, v29, v28
	v_add_u32_e32 v17, v17, v28
	v_and_b32_e32 v29, 64, v21
	s_nop 0
	v_mov_b32_dpp v28, v17 row_bcast:31 row_mask:0xf bank_mask:0xf
	v_cndmask_b32_e32 v28, 0, v28, vcc
	v_add_u32_e32 v17, v17, v28
	v_add_u32_e32 v28, -1, v21
	v_cmp_lt_i32_e32 vcc, v28, v29
	v_cndmask_b32_e32 v21, v28, v21, vcc
	v_lshlrev_b32_e32 v21, 2, v21
	ds_bpermute_b32 v17, v21, v17
	s_waitcnt lgkmcnt(0)
	v_add_u32_e32 v2, v17, v2
	v_cndmask_b32_e64 v1, v2, v1, s[2:3]
	v_add_u32_e32 v2, v1, v3
	ds_write2_b32 v12, v1, v2 offset1:1
	v_add_u32_e32 v1, v2, v6
	v_add_u32_e32 v2, v1, v7
	ds_write2_b32 v12, v1, v2 offset0:2 offset1:3
	v_add_u32_e32 v1, v2, v8
	v_add_u32_e32 v2, v1, v9
	ds_write2_b32 v12, v1, v2 offset0:4 offset1:5
	;; [unrolled: 3-line block ×7, first 2 shown]
.LBB9_173:
	s_or_b64 exec, exec, s[16:17]
	v_mov_b32_e32 v1, 0
	v_mov_b32_e32 v2, 0
	s_waitcnt lgkmcnt(0)
	s_barrier
	s_and_saveexec_b64 s[16:17], s[0:1]
	s_cbranch_execz .LBB9_175
; %bb.174:
	ds_read_b32 v2, v15
.LBB9_175:
	s_or_b64 exec, exec, s[16:17]
	ds_read_b32 v3, v1 offset:4216
	s_waitcnt lgkmcnt(1)
	v_add_u32_e32 v2, v2, v0
	v_cmp_gt_i32_e32 vcc, s42, v2
	ds_write_b32 v14, v2 offset:4096
	s_waitcnt lgkmcnt(0)
	s_barrier
	s_and_saveexec_b64 s[16:17], vcc
	s_cbranch_execz .LBB9_181
; %bb.176:
	v_add_u32_e32 v0, v3, v0
	s_and_saveexec_b64 s[18:19], s[34:35]
	s_cbranch_execz .LBB9_178
; %bb.177:
	ds_read_b32 v0, v14 offset:4100
.LBB9_178:
	s_or_b64 exec, exec, s[18:19]
	s_waitcnt lgkmcnt(0)
	v_cmp_le_i32_e32 vcc, s42, v0
	v_mov_b32_e32 v1, 0
	s_and_saveexec_b64 s[18:19], vcc
	s_cbranch_execz .LBB9_180
; %bb.179:
	s_movk_i32 s20, 0x4000
	v_or_b32_e32 v1, 0x400, v4
	v_sub_u32_e32 v0, v0, v2
	v_add_u32_e64 v2, s20, 0
	ds_write2_b32 v2, v0, v1 offset0:81 offset1:83
	v_mov_b32_e32 v1, 1
.LBB9_180:
	s_or_b64 exec, exec, s[18:19]
.LBB9_181:
	s_or_b64 exec, exec, s[16:17]
	v_or_b32_dpp v0, v1, v1 row_shl:1 row_mask:0xf bank_mask:0xf bound_ctrl:1
	s_and_b64 vcc, exec, s[4:5]
	s_nop 0
	v_or_b32_dpp v0, v0, v0 row_shl:2 row_mask:0xf bank_mask:0xf bound_ctrl:1
	s_nop 1
	v_or_b32_dpp v0, v0, v0 row_shl:4 row_mask:0xf bank_mask:0xf bound_ctrl:1
	;; [unrolled: 2-line block ×3, first 2 shown]
	s_nop 1
	v_mov_b32_dpp v1, v0 wave_shl:1 row_mask:0xf bank_mask:0xf bound_ctrl:1
	s_nop 1
	v_or_b32_dpp v0, v1, v0 row_mirror row_mask:0xf bank_mask:0xf bound_ctrl:1
	v_readlane_b32 s16, v0, 32
	v_readlane_b32 s4, v0, 0
	s_cbranch_vccnz .LBB9_188
; %bb.182:
	v_mbcnt_lo_u32_b32 v0, -1, 0
	s_bitcmp1_b32 exec_hi, 0
	v_mbcnt_hi_u32_b32 v0, -1, v0
	s_cselect_b32 s5, s16, 0
	v_or_b32_e32 v1, v0, v16
	s_or_b32 s16, s5, s4
	v_cmp_eq_u32_e32 vcc, 0, v1
	s_and_saveexec_b64 s[4:5], vcc
	s_cbranch_execz .LBB9_184
; %bb.183:
	v_mov_b32_e32 v1, 0
	v_mov_b32_e32 v2, s16
	ds_write_b32 v1, v2 offset:16448
.LBB9_184:
	s_or_b64 exec, exec, s[4:5]
	v_cmp_eq_u32_e32 vcc, 0, v0
	s_and_b64 s[18:19], s[8:9], vcc
	s_waitcnt lgkmcnt(0)
	s_barrier
	s_and_saveexec_b64 s[4:5], s[18:19]
	s_cbranch_execz .LBB9_187
; %bb.185:
	v_mbcnt_lo_u32_b32 v0, exec_lo, 0
	v_mbcnt_hi_u32_b32 v0, exec_hi, v0
	v_cmp_eq_u32_e32 vcc, 0, v0
	s_and_b64 exec, exec, vcc
	s_cbranch_execz .LBB9_187
; %bb.186:
	v_mov_b32_e32 v0, 0
	v_mov_b32_e32 v1, s16
	ds_or_b32 v0, v1 offset:16448
.LBB9_187:
	s_or_b64 exec, exec, s[4:5]
	v_mov_b32_e32 v0, 0
	s_waitcnt lgkmcnt(0)
	s_barrier
	ds_read_b32 v0, v0 offset:16448
	s_waitcnt lgkmcnt(0)
	s_barrier
.LBB9_188:
	v_mov_b32_e32 v0, 0
	s_waitcnt lgkmcnt(0)
	s_barrier
	ds_read_b32 v17, v0 offset:16716
	s_and_b64 vcc, exec, s[10:11]
	s_mov_b64 s[4:5], -1
	s_cbranch_vccnz .LBB9_201
; %bb.189:
	v_cmp_gt_i32_e32 vcc, s62, v4
	s_and_saveexec_b64 s[4:5], vcc
	s_cbranch_execz .LBB9_200
; %bb.190:
	v_mov_b32_e32 v6, 0
	ds_read_b32 v0, v6 offset:16708
	s_mul_i32 s20, s6, s7
	s_mul_hi_i32 s18, s6, s7
	s_mul_i32 s19, s20, s63
	s_mul_hi_u32 s21, s20, s42
	s_waitcnt lgkmcnt(0)
	v_readfirstlane_b32 s16, v0
	s_cmpk_lt_i32 s16, 0x801
	s_cselect_b64 s[16:17], -1, 0
	s_add_i32 s19, s21, s19
	s_mul_i32 s18, s18, s42
	s_add_i32 s19, s19, s18
	s_mul_i32 s18, s20, s42
	s_lshl_b64 s[18:19], s[18:19], 2
	s_add_u32 s18, s54, s18
	s_addc_u32 s19, s55, s19
	v_mov_b32_e32 v1, s19
	v_add_co_u32_e32 v0, vcc, s18, v20
	v_addc_co_u32_e32 v1, vcc, 0, v1, vcc
	v_mul_lo_u32 v2, v4, s41
	s_lshl_b32 s26, s41, 10
	s_mov_b64 s[18:19], 0
	v_mov_b32_e32 v7, s47
	v_mov_b32_e32 v8, 0x4150
	;; [unrolled: 1-line block ×3, first 2 shown]
	s_branch .LBB9_193
.LBB9_191:                              ;   in Loop: Header=BB9_193 Depth=1
	s_or_b64 exec, exec, s[22:23]
	global_load_dword v18, v[0:1], off
	s_waitcnt lgkmcnt(0)
	v_readfirstlane_b32 s22, v11
	v_add_lshl_u32 v10, s22, v10, 2
	s_waitcnt vmcnt(0)
	ds_write2st64_b32 v10, v18, v3 offset1:32
.LBB9_192:                              ;   in Loop: Header=BB9_193 Depth=1
	s_or_b64 exec, exec, s[20:21]
	v_add_co_u32_e32 v0, vcc, 0x1000, v0
	v_add_u32_e32 v9, 0x400, v9
	v_addc_co_u32_e32 v1, vcc, 0, v1, vcc
	v_cmp_le_i32_e32 vcc, s62, v9
	s_or_b64 s[18:19], vcc, s[18:19]
	v_add_u32_e32 v2, s26, v2
	s_andn2_b64 exec, exec, s[18:19]
	s_cbranch_execz .LBB9_200
.LBB9_193:                              ; =>This Inner Loop Header: Depth=1
	v_ashrrev_i32_e32 v3, 31, v2
	v_lshlrev_b64 v[10:11], 2, v[2:3]
	v_add_co_u32_e32 v10, vcc, s46, v10
	v_addc_co_u32_e32 v11, vcc, v7, v11, vcc
	global_load_dword v3, v[10:11], off
	s_waitcnt vmcnt(0)
	v_not_b32_e32 v10, v3
	v_and_b32_e32 v10, 0x7fe00000, v10
	v_cmp_gt_i32_e32 vcc, 0, v3
	v_cndmask_b32_e32 v10, v10, v3, vcc
	v_lshrrev_b32_e32 v10, 21, v10
	v_cmp_lt_u32_e32 vcc, v10, v17
	s_and_saveexec_b64 s[20:21], vcc
	s_cbranch_execz .LBB9_197
; %bb.194:                              ;   in Loop: Header=BB9_193 Depth=1
	s_mov_b64 s[24:25], exec
	v_mbcnt_lo_u32_b32 v11, s24, 0
	v_mbcnt_hi_u32_b32 v11, s25, v11
	v_cmp_eq_u32_e32 vcc, 0, v11
                                        ; implicit-def: $vgpr18
	s_and_saveexec_b64 s[22:23], vcc
	s_cbranch_execz .LBB9_196
; %bb.195:                              ;   in Loop: Header=BB9_193 Depth=1
	s_bcnt1_i32_b64 s24, s[24:25]
	v_mov_b32_e32 v18, s24
	ds_add_rtn_u32 v18, v6, v18 offset:16712
.LBB9_196:                              ;   in Loop: Header=BB9_193 Depth=1
	s_or_b64 exec, exec, s[22:23]
	global_load_dword v19, v[0:1], off
	s_waitcnt lgkmcnt(0)
	v_readfirstlane_b32 s22, v18
	v_add_u32_e32 v11, s22, v11
	v_lshl_add_u32 v11, v11, 2, v8
	s_waitcnt vmcnt(0)
	ds_write_b32 v11, v19
.LBB9_197:                              ;   in Loop: Header=BB9_193 Depth=1
	s_or_b64 exec, exec, s[20:21]
	v_cmp_eq_u32_e32 vcc, v10, v17
	s_and_b64 s[22:23], vcc, s[16:17]
	s_and_saveexec_b64 s[20:21], s[22:23]
	s_cbranch_execz .LBB9_192
; %bb.198:                              ;   in Loop: Header=BB9_193 Depth=1
	s_mov_b64 s[24:25], exec
	v_mbcnt_lo_u32_b32 v10, s24, 0
	v_mbcnt_hi_u32_b32 v10, s25, v10
	v_cmp_eq_u32_e32 vcc, 0, v10
                                        ; implicit-def: $vgpr11
	s_and_saveexec_b64 s[22:23], vcc
	s_cbranch_execz .LBB9_191
; %bb.199:                              ;   in Loop: Header=BB9_193 Depth=1
	s_bcnt1_i32_b64 s24, s[24:25]
	v_mov_b32_e32 v11, s24
	ds_add_rtn_u32 v11, v6, v11 offset:16704
	s_branch .LBB9_191
.LBB9_200:
	s_or_b64 exec, exec, s[4:5]
	s_mov_b64 s[4:5], 0
.LBB9_201:
	s_andn2_b64 vcc, exec, s[4:5]
	s_cbranch_vccnz .LBB9_256
; %bb.202:
	s_and_b32 s4, s46, 15
	s_sub_i32 s16, 16, s4
	s_mov_b32 s5, 0
	s_lshr_b32 s16, s16, 2
	s_cmp_lg_u64 s[4:5], 0
	s_cselect_b32 s4, s16, 0
	s_min_i32 s16, s4, s62
	s_sub_i32 s4, s62, s16
	s_ashr_i32 s5, s4, 31
	s_lshr_b32 s5, s5, 30
	s_add_i32 s4, s4, s5
	s_ashr_i32 s30, s4, 2
	v_mov_b32_e32 v10, 0
	s_mov_b64 s[18:19], 0
	s_ashr_i32 s17, s16, 31
	v_cmp_gt_i32_e32 vcc, s30, v4
	s_and_saveexec_b64 s[20:21], vcc
	s_cbranch_execz .LBB9_237
; %bb.203:
	ds_read_b32 v0, v10 offset:16708
	v_lshl_add_u32 v6, v4, 2, s16
	v_mov_b32_e32 v11, 0x4150
	v_mov_b32_e32 v18, v4
	s_waitcnt lgkmcnt(0)
	v_readfirstlane_b32 s4, v0
	s_cmpk_lt_i32 s4, 0x801
	s_cselect_b64 s[22:23], -1, 0
	s_cmpk_gt_i32 s4, 0x800
	s_cselect_b64 s[4:5], -1, 0
	s_add_u32 s31, s52, 4
	s_addc_u32 s36, s53, 0
	s_add_u32 s37, s52, 8
	s_addc_u32 s40, s53, 0
	;; [unrolled: 2-line block ×3, first 2 shown]
	s_lshl_b64 s[24:25], s[16:17], 2
	s_add_u32 s17, s48, s24
	s_addc_u32 s24, s49, s25
	s_add_u32 s17, s17, s50
	s_addc_u32 s24, s24, s51
	v_mov_b32_e32 v0, s24
	v_add_co_u32_e32 v1, vcc, s17, v5
	v_addc_co_u32_e32 v0, vcc, 0, v0, vcc
	v_add_co_u32_e32 v8, vcc, 8, v1
	v_addc_co_u32_e32 v9, vcc, 0, v0, vcc
	s_xor_b64 s[24:25], s[4:5], -1
	s_branch .LBB9_206
.LBB9_204:                              ;   in Loop: Header=BB9_206 Depth=1
	s_or_b64 exec, exec, s[26:27]
	v_ashrrev_i32_e32 v7, 31, v6
	v_lshlrev_b64 v[22:23], 2, v[6:7]
	v_mov_b32_e32 v2, s61
	v_add_co_u32_e32 v22, vcc, s60, v22
	v_addc_co_u32_e32 v23, vcc, v2, v23, vcc
	global_load_dword v2, v[22:23], off
	s_waitcnt lgkmcnt(0)
	v_readfirstlane_b32 s17, v1
	v_add_lshl_u32 v0, s17, v0, 2
	s_waitcnt vmcnt(0)
	ds_write2st64_b32 v0, v2, v3 offset1:32
.LBB9_205:                              ;   in Loop: Header=BB9_206 Depth=1
	s_or_b64 exec, exec, s[4:5]
	v_add_u32_e32 v18, 0x400, v18
	v_add_co_u32_e32 v8, vcc, 0x4000, v8
	v_cmp_le_i32_e64 s[4:5], s30, v18
	v_add_u32_e32 v6, 0x1000, v6
	s_or_b64 s[18:19], s[4:5], s[18:19]
	v_addc_co_u32_e32 v9, vcc, 0, v9, vcc
	s_andn2_b64 exec, exec, s[18:19]
	s_cbranch_execz .LBB9_237
.LBB9_206:                              ; =>This Inner Loop Header: Depth=1
	global_load_dwordx4 v[0:3], v[8:9], off offset:-8
	s_waitcnt vmcnt(0)
	v_not_b32_e32 v7, v0
	v_and_b32_e32 v7, 0x7fe00000, v7
	v_cmp_gt_i32_e32 vcc, 0, v0
	v_cndmask_b32_e32 v7, v7, v0, vcc
	v_lshrrev_b32_e32 v19, 21, v7
	v_cmp_lt_u32_e32 vcc, v19, v17
	s_and_saveexec_b64 s[4:5], vcc
	s_cbranch_execz .LBB9_210
; %bb.207:                              ;   in Loop: Header=BB9_206 Depth=1
	s_mov_b64 s[28:29], exec
	v_mbcnt_lo_u32_b32 v7, s28, 0
	v_mbcnt_hi_u32_b32 v21, s29, v7
	v_cmp_eq_u32_e32 vcc, 0, v21
                                        ; implicit-def: $vgpr22
	s_and_saveexec_b64 s[26:27], vcc
	s_cbranch_execz .LBB9_209
; %bb.208:                              ;   in Loop: Header=BB9_206 Depth=1
	s_bcnt1_i32_b64 s17, s[28:29]
	v_mov_b32_e32 v7, s17
	ds_add_rtn_u32 v22, v10, v7 offset:16712
.LBB9_209:                              ;   in Loop: Header=BB9_206 Depth=1
	s_or_b64 exec, exec, s[26:27]
	v_ashrrev_i32_e32 v7, 31, v6
	v_lshlrev_b64 v[24:25], 2, v[6:7]
	v_mov_b32_e32 v7, s53
	v_add_co_u32_e32 v24, vcc, s52, v24
	v_addc_co_u32_e32 v25, vcc, v7, v25, vcc
	global_load_dword v7, v[24:25], off
	s_waitcnt lgkmcnt(0)
	v_readfirstlane_b32 s17, v22
	v_add_u32_e32 v21, s17, v21
	v_lshl_add_u32 v21, v21, 2, v11
	s_waitcnt vmcnt(0)
	ds_write_b32 v21, v7
.LBB9_210:                              ;   in Loop: Header=BB9_206 Depth=1
	s_or_b64 exec, exec, s[4:5]
	v_cmp_eq_u32_e32 vcc, v19, v17
	s_and_b64 s[26:27], vcc, s[24:25]
	s_and_saveexec_b64 s[4:5], s[26:27]
	s_cbranch_execz .LBB9_214
; %bb.211:                              ;   in Loop: Header=BB9_206 Depth=1
	s_mov_b64 s[28:29], exec
	v_mbcnt_lo_u32_b32 v7, s28, 0
	v_mbcnt_hi_u32_b32 v19, s29, v7
	v_cmp_eq_u32_e32 vcc, 0, v19
                                        ; implicit-def: $vgpr21
	s_and_saveexec_b64 s[26:27], vcc
	s_cbranch_execz .LBB9_213
; %bb.212:                              ;   in Loop: Header=BB9_206 Depth=1
	s_bcnt1_i32_b64 s17, s[28:29]
	v_mov_b32_e32 v7, s17
	ds_add_rtn_u32 v21, v10, v7 offset:16704
.LBB9_213:                              ;   in Loop: Header=BB9_206 Depth=1
	s_or_b64 exec, exec, s[26:27]
	v_ashrrev_i32_e32 v7, 31, v6
	v_lshlrev_b64 v[22:23], 2, v[6:7]
	v_mov_b32_e32 v7, s53
	v_add_co_u32_e32 v22, vcc, s52, v22
	v_addc_co_u32_e32 v23, vcc, v7, v23, vcc
	global_load_dword v7, v[22:23], off
	s_waitcnt lgkmcnt(0)
	v_readfirstlane_b32 s17, v21
	v_add_lshl_u32 v19, s17, v19, 2
	s_waitcnt vmcnt(0)
	ds_write2st64_b32 v19, v7, v0 offset1:32
.LBB9_214:                              ;   in Loop: Header=BB9_206 Depth=1
	s_or_b64 exec, exec, s[4:5]
	v_not_b32_e32 v0, v1
	v_and_b32_e32 v0, 0x7fe00000, v0
	v_cmp_gt_i32_e32 vcc, 0, v1
	v_cndmask_b32_e32 v0, v0, v1, vcc
	v_lshrrev_b32_e32 v0, 21, v0
	v_cmp_lt_u32_e32 vcc, v0, v17
	s_and_saveexec_b64 s[4:5], vcc
	s_cbranch_execz .LBB9_218
; %bb.215:                              ;   in Loop: Header=BB9_206 Depth=1
	s_mov_b64 s[28:29], exec
	v_mbcnt_lo_u32_b32 v7, s28, 0
	v_mbcnt_hi_u32_b32 v19, s29, v7
	v_cmp_eq_u32_e32 vcc, 0, v19
                                        ; implicit-def: $vgpr21
	s_and_saveexec_b64 s[26:27], vcc
	s_cbranch_execz .LBB9_217
; %bb.216:                              ;   in Loop: Header=BB9_206 Depth=1
	s_bcnt1_i32_b64 s17, s[28:29]
	v_mov_b32_e32 v7, s17
	ds_add_rtn_u32 v21, v10, v7 offset:16712
.LBB9_217:                              ;   in Loop: Header=BB9_206 Depth=1
	s_or_b64 exec, exec, s[26:27]
	v_ashrrev_i32_e32 v7, 31, v6
	v_lshlrev_b64 v[22:23], 2, v[6:7]
	v_mov_b32_e32 v7, s36
	v_add_co_u32_e32 v22, vcc, s31, v22
	v_addc_co_u32_e32 v23, vcc, v7, v23, vcc
	global_load_dword v7, v[22:23], off
	s_waitcnt lgkmcnt(0)
	v_readfirstlane_b32 s17, v21
	v_add_u32_e32 v19, s17, v19
	v_lshl_add_u32 v19, v19, 2, v11
	s_waitcnt vmcnt(0)
	ds_write_b32 v19, v7
.LBB9_218:                              ;   in Loop: Header=BB9_206 Depth=1
	s_or_b64 exec, exec, s[4:5]
	v_cmp_eq_u32_e32 vcc, v0, v17
	s_and_b64 s[26:27], vcc, s[24:25]
	s_and_saveexec_b64 s[4:5], s[26:27]
	s_cbranch_execz .LBB9_222
; %bb.219:                              ;   in Loop: Header=BB9_206 Depth=1
	s_mov_b64 s[28:29], exec
	v_mbcnt_lo_u32_b32 v0, s28, 0
	v_mbcnt_hi_u32_b32 v0, s29, v0
	v_cmp_eq_u32_e32 vcc, 0, v0
                                        ; implicit-def: $vgpr19
	s_and_saveexec_b64 s[26:27], vcc
	s_cbranch_execz .LBB9_221
; %bb.220:                              ;   in Loop: Header=BB9_206 Depth=1
	s_bcnt1_i32_b64 s17, s[28:29]
	v_mov_b32_e32 v7, s17
	ds_add_rtn_u32 v19, v10, v7 offset:16704
.LBB9_221:                              ;   in Loop: Header=BB9_206 Depth=1
	s_or_b64 exec, exec, s[26:27]
	v_ashrrev_i32_e32 v7, 31, v6
	v_lshlrev_b64 v[22:23], 2, v[6:7]
	v_mov_b32_e32 v7, s36
	v_add_co_u32_e32 v22, vcc, s31, v22
	v_addc_co_u32_e32 v23, vcc, v7, v23, vcc
	global_load_dword v7, v[22:23], off
	s_waitcnt lgkmcnt(0)
	v_readfirstlane_b32 s17, v19
	v_add_lshl_u32 v0, s17, v0, 2
	s_waitcnt vmcnt(0)
	ds_write2st64_b32 v0, v7, v1 offset1:32
.LBB9_222:                              ;   in Loop: Header=BB9_206 Depth=1
	s_or_b64 exec, exec, s[4:5]
	v_not_b32_e32 v0, v2
	v_and_b32_e32 v0, 0x7fe00000, v0
	v_cmp_gt_i32_e32 vcc, 0, v2
	v_cndmask_b32_e32 v0, v0, v2, vcc
	v_lshrrev_b32_e32 v0, 21, v0
	v_cmp_lt_u32_e32 vcc, v0, v17
	s_and_saveexec_b64 s[4:5], vcc
	s_cbranch_execz .LBB9_226
; %bb.223:                              ;   in Loop: Header=BB9_206 Depth=1
	s_mov_b64 s[28:29], exec
	v_mbcnt_lo_u32_b32 v1, s28, 0
	v_mbcnt_hi_u32_b32 v1, s29, v1
	v_cmp_eq_u32_e32 vcc, 0, v1
                                        ; implicit-def: $vgpr19
	s_and_saveexec_b64 s[26:27], vcc
	s_cbranch_execz .LBB9_225
; %bb.224:                              ;   in Loop: Header=BB9_206 Depth=1
	s_bcnt1_i32_b64 s17, s[28:29]
	v_mov_b32_e32 v7, s17
	ds_add_rtn_u32 v19, v10, v7 offset:16712
.LBB9_225:                              ;   in Loop: Header=BB9_206 Depth=1
	s_or_b64 exec, exec, s[26:27]
	v_ashrrev_i32_e32 v7, 31, v6
	v_lshlrev_b64 v[22:23], 2, v[6:7]
	v_mov_b32_e32 v7, s40
	v_add_co_u32_e32 v22, vcc, s37, v22
	v_addc_co_u32_e32 v23, vcc, v7, v23, vcc
	global_load_dword v7, v[22:23], off
	s_waitcnt lgkmcnt(0)
	v_readfirstlane_b32 s17, v19
	v_add_u32_e32 v1, s17, v1
	v_lshl_add_u32 v1, v1, 2, v11
	s_waitcnt vmcnt(0)
	ds_write_b32 v1, v7
.LBB9_226:                              ;   in Loop: Header=BB9_206 Depth=1
	s_or_b64 exec, exec, s[4:5]
	v_cmp_eq_u32_e32 vcc, v0, v17
	s_and_b64 s[26:27], vcc, s[24:25]
	s_and_saveexec_b64 s[4:5], s[26:27]
	s_cbranch_execz .LBB9_230
; %bb.227:                              ;   in Loop: Header=BB9_206 Depth=1
	s_mov_b64 s[28:29], exec
	v_mbcnt_lo_u32_b32 v0, s28, 0
	v_mbcnt_hi_u32_b32 v0, s29, v0
	v_cmp_eq_u32_e32 vcc, 0, v0
                                        ; implicit-def: $vgpr1
	s_and_saveexec_b64 s[26:27], vcc
	s_cbranch_execz .LBB9_229
; %bb.228:                              ;   in Loop: Header=BB9_206 Depth=1
	s_bcnt1_i32_b64 s17, s[28:29]
	v_mov_b32_e32 v1, s17
	ds_add_rtn_u32 v1, v10, v1 offset:16704
.LBB9_229:                              ;   in Loop: Header=BB9_206 Depth=1
	s_or_b64 exec, exec, s[26:27]
	v_ashrrev_i32_e32 v7, 31, v6
	v_lshlrev_b64 v[22:23], 2, v[6:7]
	v_mov_b32_e32 v7, s40
	v_add_co_u32_e32 v22, vcc, s37, v22
	v_addc_co_u32_e32 v23, vcc, v7, v23, vcc
	global_load_dword v7, v[22:23], off
	s_waitcnt lgkmcnt(0)
	v_readfirstlane_b32 s17, v1
	v_add_lshl_u32 v0, s17, v0, 2
	s_waitcnt vmcnt(0)
	ds_write2st64_b32 v0, v7, v2 offset1:32
.LBB9_230:                              ;   in Loop: Header=BB9_206 Depth=1
	s_or_b64 exec, exec, s[4:5]
	v_not_b32_e32 v0, v3
	v_and_b32_e32 v0, 0x7fe00000, v0
	v_cmp_gt_i32_e32 vcc, 0, v3
	v_cndmask_b32_e32 v0, v0, v3, vcc
	v_lshrrev_b32_e32 v0, 21, v0
	v_cmp_lt_u32_e32 vcc, v0, v17
	s_and_saveexec_b64 s[4:5], vcc
	s_cbranch_execz .LBB9_234
; %bb.231:                              ;   in Loop: Header=BB9_206 Depth=1
	s_mov_b64 s[28:29], exec
	v_mbcnt_lo_u32_b32 v1, s28, 0
	v_mbcnt_hi_u32_b32 v1, s29, v1
	v_cmp_eq_u32_e32 vcc, 0, v1
                                        ; implicit-def: $vgpr2
	s_and_saveexec_b64 s[26:27], vcc
	s_cbranch_execz .LBB9_233
; %bb.232:                              ;   in Loop: Header=BB9_206 Depth=1
	s_bcnt1_i32_b64 s17, s[28:29]
	v_mov_b32_e32 v2, s17
	ds_add_rtn_u32 v2, v10, v2 offset:16712
.LBB9_233:                              ;   in Loop: Header=BB9_206 Depth=1
	s_or_b64 exec, exec, s[26:27]
	v_ashrrev_i32_e32 v7, 31, v6
	v_lshlrev_b64 v[22:23], 2, v[6:7]
	v_mov_b32_e32 v7, s61
	v_add_co_u32_e32 v22, vcc, s60, v22
	v_addc_co_u32_e32 v23, vcc, v7, v23, vcc
	global_load_dword v7, v[22:23], off
	s_waitcnt lgkmcnt(0)
	v_readfirstlane_b32 s17, v2
	v_add_u32_e32 v1, s17, v1
	v_lshl_add_u32 v1, v1, 2, v11
	s_waitcnt vmcnt(0)
	ds_write_b32 v1, v7
.LBB9_234:                              ;   in Loop: Header=BB9_206 Depth=1
	s_or_b64 exec, exec, s[4:5]
	v_cmp_eq_u32_e32 vcc, v0, v17
	s_and_b64 s[26:27], vcc, s[22:23]
	s_and_saveexec_b64 s[4:5], s[26:27]
	s_cbranch_execz .LBB9_205
; %bb.235:                              ;   in Loop: Header=BB9_206 Depth=1
	s_mov_b64 s[28:29], exec
	v_mbcnt_lo_u32_b32 v0, s28, 0
	v_mbcnt_hi_u32_b32 v0, s29, v0
	v_cmp_eq_u32_e32 vcc, 0, v0
                                        ; implicit-def: $vgpr1
	s_and_saveexec_b64 s[26:27], vcc
	s_cbranch_execz .LBB9_204
; %bb.236:                              ;   in Loop: Header=BB9_206 Depth=1
	s_bcnt1_i32_b64 s17, s[28:29]
	v_mov_b32_e32 v1, s17
	ds_add_rtn_u32 v1, v10, v1 offset:16704
	s_branch .LBB9_204
.LBB9_237:
	s_or_b64 exec, exec, s[20:21]
	v_cmp_gt_u32_e32 vcc, s16, v4
	s_and_saveexec_b64 s[4:5], vcc
	s_cbranch_execz .LBB9_246
; %bb.238:
	global_load_dword v0, v20, s[46:47]
	s_waitcnt vmcnt(0)
	v_not_b32_e32 v1, v0
	v_and_b32_e32 v1, 0x7fe00000, v1
	v_cmp_gt_i32_e32 vcc, 0, v0
	v_cndmask_b32_e32 v1, v1, v0, vcc
	v_lshrrev_b32_e32 v1, 21, v1
	s_waitcnt lgkmcnt(0)
	v_cmp_lt_u32_e32 vcc, v1, v17
	s_and_saveexec_b64 s[18:19], vcc
	s_cbranch_execz .LBB9_242
; %bb.239:
	s_mov_b64 s[22:23], exec
	v_mbcnt_lo_u32_b32 v2, s22, 0
	v_mbcnt_hi_u32_b32 v2, s23, v2
	v_cmp_eq_u32_e32 vcc, 0, v2
                                        ; implicit-def: $vgpr3
	s_and_saveexec_b64 s[20:21], vcc
	s_cbranch_execz .LBB9_241
; %bb.240:
	s_bcnt1_i32_b64 s17, s[22:23]
	v_mov_b32_e32 v3, 0
	v_mov_b32_e32 v6, s17
	ds_add_rtn_u32 v3, v3, v6 offset:16712
.LBB9_241:
	s_or_b64 exec, exec, s[20:21]
	global_load_dword v6, v20, s[52:53]
	s_waitcnt lgkmcnt(0)
	v_readfirstlane_b32 s17, v3
	v_add_u32_e32 v2, s17, v2
	v_mov_b32_e32 v3, 0x4150
	v_lshl_add_u32 v2, v2, 2, v3
	s_waitcnt vmcnt(0)
	ds_write_b32 v2, v6
.LBB9_242:
	s_or_b64 exec, exec, s[18:19]
	v_mov_b32_e32 v2, 0
	ds_read_b32 v2, v2 offset:16708
	v_cmp_eq_u32_e32 vcc, v1, v17
	s_waitcnt lgkmcnt(0)
	v_readfirstlane_b32 s17, v2
	s_cmpk_lt_i32 s17, 0x801
	s_cselect_b64 s[18:19], -1, 0
	s_and_b64 s[18:19], vcc, s[18:19]
	s_and_b64 exec, exec, s[18:19]
	s_cbranch_execz .LBB9_246
; %bb.243:
	s_mov_b64 s[20:21], exec
	v_mbcnt_lo_u32_b32 v1, s20, 0
	v_mbcnt_hi_u32_b32 v1, s21, v1
	v_cmp_eq_u32_e32 vcc, 0, v1
                                        ; implicit-def: $vgpr2
	s_and_saveexec_b64 s[18:19], vcc
	s_cbranch_execz .LBB9_245
; %bb.244:
	s_bcnt1_i32_b64 s17, s[20:21]
	v_mov_b32_e32 v2, 0
	v_mov_b32_e32 v3, s17
	ds_add_rtn_u32 v2, v2, v3 offset:16704
.LBB9_245:
	s_or_b64 exec, exec, s[18:19]
	global_load_dword v3, v20, s[52:53]
	s_waitcnt lgkmcnt(0)
	v_readfirstlane_b32 s17, v2
	v_add_lshl_u32 v1, s17, v1, 2
	s_waitcnt vmcnt(0)
	ds_write2st64_b32 v1, v3, v0 offset1:32
.LBB9_246:
	s_or_b64 exec, exec, s[4:5]
	s_lshl_b32 s4, s30, 2
	s_add_i32 s4, s4, s16
	v_add_u32_e32 v0, s4, v4
	v_cmp_gt_i32_e32 vcc, s62, v0
	s_and_saveexec_b64 s[4:5], vcc
	s_cbranch_execz .LBB9_255
; %bb.247:
	v_ashrrev_i32_e32 v1, 31, v0
	v_lshlrev_b64 v[0:1], 2, v[0:1]
	v_mov_b32_e32 v3, s47
	v_add_co_u32_e32 v2, vcc, s46, v0
	v_addc_co_u32_e32 v3, vcc, v3, v1, vcc
	global_load_dword v2, v[2:3], off
	s_waitcnt vmcnt(0)
	v_not_b32_e32 v3, v2
	v_and_b32_e32 v3, 0x7fe00000, v3
	v_cmp_gt_i32_e32 vcc, 0, v2
	v_cndmask_b32_e32 v3, v3, v2, vcc
	v_lshrrev_b32_e32 v3, 21, v3
	s_waitcnt lgkmcnt(0)
	v_cmp_lt_u32_e32 vcc, v3, v17
	s_and_saveexec_b64 s[16:17], vcc
	s_cbranch_execz .LBB9_251
; %bb.248:
	s_mov_b64 s[20:21], exec
	v_mbcnt_lo_u32_b32 v6, s20, 0
	v_mbcnt_hi_u32_b32 v6, s21, v6
	v_cmp_eq_u32_e32 vcc, 0, v6
                                        ; implicit-def: $vgpr7
	s_and_saveexec_b64 s[18:19], vcc
	s_cbranch_execz .LBB9_250
; %bb.249:
	s_bcnt1_i32_b64 s20, s[20:21]
	v_mov_b32_e32 v7, 0
	v_mov_b32_e32 v8, s20
	ds_add_rtn_u32 v7, v7, v8 offset:16712
.LBB9_250:
	s_or_b64 exec, exec, s[18:19]
	v_mov_b32_e32 v9, s53
	v_add_co_u32_e32 v8, vcc, s52, v0
	v_addc_co_u32_e32 v9, vcc, v9, v1, vcc
	global_load_dword v8, v[8:9], off
	s_waitcnt lgkmcnt(0)
	v_readfirstlane_b32 s18, v7
	v_add_u32_e32 v6, s18, v6
	v_mov_b32_e32 v7, 0x4150
	v_lshl_add_u32 v6, v6, 2, v7
	s_waitcnt vmcnt(0)
	ds_write_b32 v6, v8
.LBB9_251:
	s_or_b64 exec, exec, s[16:17]
	v_mov_b32_e32 v6, 0
	ds_read_b32 v6, v6 offset:16708
	v_cmp_eq_u32_e32 vcc, v3, v17
	s_waitcnt lgkmcnt(0)
	v_readfirstlane_b32 s16, v6
	s_cmpk_lt_i32 s16, 0x801
	s_cselect_b64 s[16:17], -1, 0
	s_and_b64 s[16:17], vcc, s[16:17]
	s_and_b64 exec, exec, s[16:17]
	s_cbranch_execz .LBB9_255
; %bb.252:
	s_mov_b64 s[18:19], exec
	v_mbcnt_lo_u32_b32 v3, s18, 0
	v_mbcnt_hi_u32_b32 v3, s19, v3
	v_cmp_eq_u32_e32 vcc, 0, v3
                                        ; implicit-def: $vgpr6
	s_and_saveexec_b64 s[16:17], vcc
	s_cbranch_execz .LBB9_254
; %bb.253:
	s_bcnt1_i32_b64 s18, s[18:19]
	v_mov_b32_e32 v6, 0
	v_mov_b32_e32 v7, s18
	ds_add_rtn_u32 v6, v6, v7 offset:16704
.LBB9_254:
	s_or_b64 exec, exec, s[16:17]
	v_mov_b32_e32 v7, s53
	v_add_co_u32_e32 v0, vcc, s52, v0
	v_addc_co_u32_e32 v1, vcc, v7, v1, vcc
	global_load_dword v0, v[0:1], off
	s_waitcnt lgkmcnt(0)
	v_readfirstlane_b32 s16, v6
	v_add_lshl_u32 v1, s16, v3, 2
	s_waitcnt vmcnt(0)
	ds_write2st64_b32 v1, v0, v2 offset1:32
.LBB9_255:
	s_or_b64 exec, exec, s[4:5]
.LBB9_256:
	v_mov_b32_e32 v0, 0
	s_waitcnt lgkmcnt(0)
	s_barrier
	ds_read_b32 v0, v0 offset:16708
	s_movk_i32 s4, 0x800
	s_waitcnt lgkmcnt(0)
	v_cmp_lt_i32_e64 s[4:5], s4, v0
.LBB9_257:
	s_andn2_b64 vcc, exec, s[4:5]
	s_cbranch_vccnz .LBB9_264
; %bb.258:
	v_mov_b32_e32 v0, 0
	v_lshlrev_b32_e32 v18, 21, v17
	s_and_b64 vcc, exec, s[10:11]
	s_mov_b64 s[4:5], -1
	ds_write_b32 v20, v0 offset:4224
	ds_write_b32 v14, v0 offset:4096
	s_waitcnt lgkmcnt(0)
	s_barrier
	s_cbranch_vccnz .LBB9_266
; %bb.259:
	v_cmp_gt_i32_e32 vcc, s62, v4
	s_and_saveexec_b64 s[4:5], vcc
	s_cbranch_execz .LBB9_265
; %bb.260:
	v_mul_lo_u32 v0, v4, s41
	s_lshl_b32 s20, s41, 10
	s_mov_b64 s[16:17], 0
	v_mov_b32_e32 v2, s47
	s_mov_b32 s21, 0x200000
	v_mov_b32_e32 v3, 1
	v_mov_b32_e32 v6, v4
	s_branch .LBB9_262
.LBB9_261:                              ;   in Loop: Header=BB9_262 Depth=1
	s_or_b64 exec, exec, s[18:19]
	v_add_u32_e32 v6, 0x400, v6
	v_cmp_le_i32_e32 vcc, s62, v6
	s_or_b64 s[16:17], vcc, s[16:17]
	v_add_u32_e32 v0, s20, v0
	s_andn2_b64 exec, exec, s[16:17]
	s_cbranch_execz .LBB9_265
.LBB9_262:                              ; =>This Inner Loop Header: Depth=1
	v_ashrrev_i32_e32 v1, 31, v0
	v_lshlrev_b64 v[8:9], 2, v[0:1]
	v_add_co_u32_e32 v8, vcc, s46, v8
	v_addc_co_u32_e32 v9, vcc, v2, v9, vcc
	global_load_dword v1, v[8:9], off
	s_waitcnt vmcnt(0)
	v_not_b32_e32 v7, v1
	v_and_b32_e32 v8, 0x7fe00000, v7
	v_cmp_gt_i32_e32 vcc, 0, v1
	v_cndmask_b32_e32 v8, v8, v1, vcc
	v_xor_b32_e32 v8, v8, v18
	v_cmp_gt_u32_e32 vcc, s21, v8
	s_and_saveexec_b64 s[18:19], vcc
	s_cbranch_execz .LBB9_261
; %bb.263:                              ;   in Loop: Header=BB9_262 Depth=1
	v_lshrrev_b32_e32 v1, 10, v1
	v_ashrrev_i32_e32 v7, 31, v7
	v_xor_b32_e32 v1, v1, v7
	v_and_b32_e32 v1, 0x7ff, v1
	v_lshlrev_b32_e32 v1, 2, v1
	ds_add_u32 v1, v3 offset:4224
	s_branch .LBB9_261
.LBB9_264:
	v_mov_b32_e32 v18, 0
	s_mov_b64 s[4:5], -1
	s_cbranch_execnz .LBB9_396
	s_branch .LBB9_419
.LBB9_265:
	s_or_b64 exec, exec, s[4:5]
	s_mov_b64 s[4:5], 0
.LBB9_266:
	s_andn2_b64 vcc, exec, s[4:5]
	s_cbranch_vccnz .LBB9_285
; %bb.267:
	s_and_b32 s4, s46, 15
	s_sub_i32 s16, 16, s4
	s_mov_b32 s5, 0
	s_lshr_b32 s16, s16, 2
	s_cmp_lg_u64 s[4:5], 0
	s_cselect_b32 s4, s16, 0
	s_min_i32 s16, s4, s62
	s_sub_i32 s4, s62, s16
	s_ashr_i32 s5, s4, 31
	s_lshr_b32 s5, s5, 30
	s_add_i32 s4, s4, s5
	s_ashr_i32 s22, s4, 2
	s_mov_b64 s[18:19], 0
	s_ashr_i32 s17, s16, 31
	v_cmp_gt_i32_e32 vcc, s22, v4
	s_and_saveexec_b64 s[20:21], vcc
	s_cbranch_execz .LBB9_278
; %bb.268:
	s_lshl_b64 s[4:5], s[16:17], 2
	s_add_u32 s4, s48, s4
	s_addc_u32 s5, s49, s5
	s_add_u32 s4, s4, s50
	s_addc_u32 s5, s5, s51
	v_mov_b32_e32 v0, s5
	v_add_co_u32_e32 v1, vcc, s4, v5
	v_addc_co_u32_e32 v0, vcc, 0, v0, vcc
	v_add_co_u32_e32 v6, vcc, 8, v1
	v_addc_co_u32_e32 v7, vcc, 0, v0, vcc
	s_mov_b32 s17, 0x200000
	v_mov_b32_e32 v8, 1
	v_mov_b32_e32 v9, v4
	s_branch .LBB9_270
.LBB9_269:                              ;   in Loop: Header=BB9_270 Depth=1
	s_or_b64 exec, exec, s[4:5]
	v_add_u32_e32 v9, 0x400, v9
	v_add_co_u32_e32 v6, vcc, 0x4000, v6
	v_cmp_le_i32_e64 s[4:5], s22, v9
	s_or_b64 s[18:19], s[4:5], s[18:19]
	v_addc_co_u32_e32 v7, vcc, 0, v7, vcc
	s_andn2_b64 exec, exec, s[18:19]
	s_cbranch_execz .LBB9_278
.LBB9_270:                              ; =>This Inner Loop Header: Depth=1
	global_load_dwordx4 v[0:3], v[6:7], off offset:-8
	s_waitcnt vmcnt(0)
	v_not_b32_e32 v10, v0
	v_and_b32_e32 v11, 0x7fe00000, v10
	v_cmp_gt_i32_e32 vcc, 0, v0
	v_cndmask_b32_e32 v11, v11, v0, vcc
	v_xor_b32_e32 v11, v11, v18
	v_cmp_gt_u32_e32 vcc, s17, v11
	s_and_saveexec_b64 s[4:5], vcc
	s_cbranch_execz .LBB9_272
; %bb.271:                              ;   in Loop: Header=BB9_270 Depth=1
	v_lshrrev_b32_e32 v0, 10, v0
	v_ashrrev_i32_e32 v10, 31, v10
	v_xor_b32_e32 v0, v0, v10
	v_and_b32_e32 v0, 0x7ff, v0
	v_lshlrev_b32_e32 v0, 2, v0
	ds_add_u32 v0, v8 offset:4224
.LBB9_272:                              ;   in Loop: Header=BB9_270 Depth=1
	s_or_b64 exec, exec, s[4:5]
	v_not_b32_e32 v0, v1
	v_and_b32_e32 v10, 0x7fe00000, v0
	v_cmp_gt_i32_e32 vcc, 0, v1
	v_cndmask_b32_e32 v10, v10, v1, vcc
	v_xor_b32_e32 v10, v10, v18
	v_cmp_gt_u32_e32 vcc, s17, v10
	s_and_saveexec_b64 s[4:5], vcc
	s_cbranch_execz .LBB9_274
; %bb.273:                              ;   in Loop: Header=BB9_270 Depth=1
	v_lshrrev_b32_e32 v1, 10, v1
	v_ashrrev_i32_e32 v0, 31, v0
	v_xor_b32_e32 v0, v1, v0
	v_and_b32_e32 v0, 0x7ff, v0
	v_lshlrev_b32_e32 v0, 2, v0
	ds_add_u32 v0, v8 offset:4224
.LBB9_274:                              ;   in Loop: Header=BB9_270 Depth=1
	s_or_b64 exec, exec, s[4:5]
	;; [unrolled: 17-line block ×3, first 2 shown]
	v_not_b32_e32 v0, v3
	v_and_b32_e32 v1, 0x7fe00000, v0
	v_cmp_gt_i32_e32 vcc, 0, v3
	v_cndmask_b32_e32 v1, v1, v3, vcc
	v_xor_b32_e32 v1, v1, v18
	v_cmp_gt_u32_e32 vcc, s17, v1
	s_and_saveexec_b64 s[4:5], vcc
	s_cbranch_execz .LBB9_269
; %bb.277:                              ;   in Loop: Header=BB9_270 Depth=1
	v_lshrrev_b32_e32 v1, 10, v3
	v_ashrrev_i32_e32 v0, 31, v0
	v_xor_b32_e32 v0, v1, v0
	v_and_b32_e32 v0, 0x7ff, v0
	v_lshlrev_b32_e32 v0, 2, v0
	ds_add_u32 v0, v8 offset:4224
	s_branch .LBB9_269
.LBB9_278:
	s_or_b64 exec, exec, s[20:21]
	v_cmp_gt_u32_e32 vcc, s16, v4
	s_and_saveexec_b64 s[4:5], vcc
	s_cbranch_execz .LBB9_281
; %bb.279:
	global_load_dword v0, v20, s[46:47]
	s_mov_b32 s17, 0x200000
	s_waitcnt vmcnt(0)
	v_not_b32_e32 v1, v0
	v_and_b32_e32 v2, 0x7fe00000, v1
	v_cmp_gt_i32_e32 vcc, 0, v0
	v_cndmask_b32_e32 v2, v2, v0, vcc
	v_xor_b32_e32 v2, v2, v18
	v_cmp_gt_u32_e32 vcc, s17, v2
	s_and_b64 exec, exec, vcc
	s_cbranch_execz .LBB9_281
; %bb.280:
	v_lshrrev_b32_e32 v0, 10, v0
	v_ashrrev_i32_e32 v1, 31, v1
	v_xor_b32_e32 v0, v0, v1
	v_and_b32_e32 v0, 0x7ff, v0
	v_lshlrev_b32_e32 v0, 2, v0
	v_mov_b32_e32 v1, 1
	ds_add_u32 v0, v1 offset:4224
.LBB9_281:
	s_or_b64 exec, exec, s[4:5]
	s_lshl_b32 s4, s22, 2
	s_add_i32 s4, s4, s16
	v_add_u32_e32 v0, s4, v4
	v_cmp_gt_i32_e32 vcc, s62, v0
	s_and_saveexec_b64 s[4:5], vcc
	s_cbranch_execz .LBB9_284
; %bb.282:
	v_ashrrev_i32_e32 v1, 31, v0
	v_lshlrev_b64 v[0:1], 2, v[0:1]
	v_mov_b32_e32 v2, s47
	v_add_co_u32_e32 v0, vcc, s46, v0
	v_addc_co_u32_e32 v1, vcc, v2, v1, vcc
	global_load_dword v0, v[0:1], off
	s_mov_b32 s16, 0x200000
	s_waitcnt vmcnt(0)
	v_not_b32_e32 v1, v0
	v_and_b32_e32 v2, 0x7fe00000, v1
	v_cmp_gt_i32_e32 vcc, 0, v0
	v_cndmask_b32_e32 v2, v2, v0, vcc
	v_xor_b32_e32 v2, v2, v18
	v_cmp_gt_u32_e32 vcc, s16, v2
	s_and_b64 exec, exec, vcc
	s_cbranch_execz .LBB9_284
; %bb.283:
	v_lshrrev_b32_e32 v0, 10, v0
	v_ashrrev_i32_e32 v1, 31, v1
	v_xor_b32_e32 v0, v0, v1
	v_and_b32_e32 v0, 0x7ff, v0
	v_lshlrev_b32_e32 v0, 2, v0
	v_mov_b32_e32 v1, 1
	ds_add_u32 v0, v1 offset:4224
.LBB9_284:
	s_or_b64 exec, exec, s[4:5]
.LBB9_285:
	s_waitcnt lgkmcnt(0)
	s_barrier
	v_mov_b32_e32 v1, 0
	ds_read_b32 v2, v20 offset:4224
	ds_read_b32 v0, v1 offset:16712
	s_waitcnt lgkmcnt(0)
	s_barrier
	ds_write_b32 v13, v2
	s_waitcnt lgkmcnt(0)
	s_barrier
	s_and_saveexec_b64 s[4:5], s[14:15]
	s_cbranch_execz .LBB9_287
; %bb.286:
	ds_read2_b32 v[6:7], v12 offset1:1
	ds_read2_b32 v[8:9], v12 offset0:2 offset1:3
	ds_read2_b32 v[10:11], v12 offset0:4 offset1:5
	;; [unrolled: 1-line block ×7, first 2 shown]
	s_waitcnt lgkmcnt(7)
	v_add_u32_e32 v3, v7, v6
	s_waitcnt lgkmcnt(6)
	v_add3_u32 v3, v3, v8, v9
	s_waitcnt lgkmcnt(5)
	v_add3_u32 v3, v3, v10, v11
	;; [unrolled: 2-line block ×5, first 2 shown]
	v_mbcnt_lo_u32_b32 v17, -1, 0
	s_waitcnt lgkmcnt(1)
	v_add3_u32 v3, v3, v28, v29
	v_mbcnt_hi_u32_b32 v17, -1, v17
	s_waitcnt lgkmcnt(0)
	v_add3_u32 v3, v3, v30, v31
	v_and_b32_e32 v19, 15, v17
	v_cmp_ne_u32_e32 vcc, 0, v19
	v_mov_b32_dpp v21, v3 row_shr:1 row_mask:0xf bank_mask:0xf
	v_cndmask_b32_e32 v21, 0, v21, vcc
	v_add_u32_e32 v3, v21, v3
	v_cmp_lt_u32_e32 vcc, 1, v19
	s_nop 0
	v_mov_b32_dpp v21, v3 row_shr:2 row_mask:0xf bank_mask:0xf
	v_cndmask_b32_e32 v21, 0, v21, vcc
	v_add_u32_e32 v3, v3, v21
	v_cmp_lt_u32_e32 vcc, 3, v19
	s_nop 0
	;; [unrolled: 5-line block ×3, first 2 shown]
	v_mov_b32_dpp v21, v3 row_shr:8 row_mask:0xf bank_mask:0xf
	v_cndmask_b32_e32 v19, 0, v21, vcc
	v_add_u32_e32 v3, v3, v19
	v_bfe_i32 v21, v17, 4, 1
	v_cmp_lt_u32_e32 vcc, 31, v17
	v_mov_b32_dpp v19, v3 row_bcast:15 row_mask:0xf bank_mask:0xf
	v_and_b32_e32 v19, v21, v19
	v_add_u32_e32 v3, v3, v19
	v_and_b32_e32 v21, 64, v17
	s_nop 0
	v_mov_b32_dpp v19, v3 row_bcast:31 row_mask:0xf bank_mask:0xf
	v_cndmask_b32_e32 v19, 0, v19, vcc
	v_add_u32_e32 v3, v3, v19
	v_add_u32_e32 v19, -1, v17
	v_cmp_lt_i32_e32 vcc, v19, v21
	v_cndmask_b32_e32 v17, v19, v17, vcc
	v_lshlrev_b32_e32 v17, 2, v17
	ds_bpermute_b32 v3, v17, v3
	s_waitcnt lgkmcnt(0)
	v_add_u32_e32 v3, v3, v6
	v_cndmask_b32_e64 v2, v3, v2, s[2:3]
	v_add_u32_e32 v3, v2, v7
	ds_write2_b32 v12, v2, v3 offset1:1
	v_add_u32_e32 v2, v3, v8
	v_add_u32_e32 v3, v2, v9
	ds_write2_b32 v12, v2, v3 offset0:2 offset1:3
	v_add_u32_e32 v2, v3, v10
	v_add_u32_e32 v3, v2, v11
	ds_write2_b32 v12, v2, v3 offset0:4 offset1:5
	;; [unrolled: 3-line block ×7, first 2 shown]
.LBB9_287:
	s_or_b64 exec, exec, s[4:5]
	s_waitcnt lgkmcnt(0)
	s_barrier
	s_and_saveexec_b64 s[4:5], s[0:1]
	s_cbranch_execz .LBB9_289
; %bb.288:
	ds_read_b32 v1, v15
.LBB9_289:
	s_or_b64 exec, exec, s[4:5]
	v_mov_b32_e32 v2, 0
	ds_read_b32 v3, v2 offset:4216
	s_waitcnt lgkmcnt(1)
	v_add_u32_e32 v1, v1, v0
	v_cmp_gt_i32_e32 vcc, s42, v1
	ds_write_b32 v20, v1 offset:4224
	s_waitcnt lgkmcnt(0)
	v_add_u32_e32 v0, v3, v0
	s_barrier
	s_and_saveexec_b64 s[4:5], vcc
	s_cbranch_execz .LBB9_295
; %bb.290:
	v_mov_b32_e32 v3, v0
	s_and_saveexec_b64 s[16:17], s[34:35]
	s_cbranch_execz .LBB9_292
; %bb.291:
	ds_read_b32 v3, v14 offset:4
.LBB9_292:
	s_or_b64 exec, exec, s[16:17]
	s_waitcnt lgkmcnt(0)
	v_cmp_le_i32_e32 vcc, s42, v3
	v_mov_b32_e32 v2, 0
	s_and_saveexec_b64 s[16:17], vcc
	s_cbranch_execz .LBB9_294
; %bb.293:
	s_movk_i32 s18, 0x4000
	v_sub_u32_e32 v1, v3, v1
	v_add_u32_e64 v2, s18, 0
	ds_write2_b32 v2, v1, v4 offset0:81 offset1:83
	v_mov_b32_e32 v2, 1
.LBB9_294:
	s_or_b64 exec, exec, s[16:17]
.LBB9_295:
	s_or_b64 exec, exec, s[4:5]
	v_or_b32_dpp v1, v2, v2 row_shl:1 row_mask:0xf bank_mask:0xf bound_ctrl:1
	s_bitcmp1_b32 exec_hi, 0
	s_nop 0
	v_or_b32_dpp v1, v1, v1 row_shl:2 row_mask:0xf bank_mask:0xf bound_ctrl:1
	s_nop 1
	v_or_b32_dpp v1, v1, v1 row_shl:4 row_mask:0xf bank_mask:0xf bound_ctrl:1
	;; [unrolled: 2-line block ×3, first 2 shown]
	s_nop 1
	v_mov_b32_dpp v2, v1 wave_shl:1 row_mask:0xf bank_mask:0xf bound_ctrl:1
	s_nop 1
	v_or_b32_dpp v1, v2, v1 row_mirror row_mask:0xf bank_mask:0xf bound_ctrl:1
	v_readlane_b32 s4, v1, 32
	s_cselect_b32 s4, s4, 0
	v_readlane_b32 s5, v1, 0
	s_or_b32 s18, s4, s5
	v_cndmask_b32_e64 v1, 0, 1, s[56:57]
	v_cmp_ne_u32_e64 s[4:5], 1, v1
	s_andn2_b64 vcc, exec, s[56:57]
	v_mov_b32_e32 v1, s18
	s_cbranch_vccnz .LBB9_302
; %bb.296:
	v_mbcnt_lo_u32_b32 v1, -1, 0
	v_mbcnt_hi_u32_b32 v1, -1, v1
	v_or_b32_e32 v2, v1, v16
	v_cmp_eq_u32_e32 vcc, 0, v2
	s_and_saveexec_b64 s[16:17], vcc
	s_cbranch_execz .LBB9_298
; %bb.297:
	v_mov_b32_e32 v2, 0
	v_mov_b32_e32 v3, s18
	ds_write_b32 v2, v3 offset:16448
.LBB9_298:
	s_or_b64 exec, exec, s[16:17]
	v_cmp_eq_u32_e32 vcc, 0, v1
	s_and_b64 s[20:21], s[8:9], vcc
	s_waitcnt lgkmcnt(0)
	s_barrier
	s_and_saveexec_b64 s[16:17], s[20:21]
	s_cbranch_execz .LBB9_301
; %bb.299:
	v_mbcnt_lo_u32_b32 v1, exec_lo, 0
	v_mbcnt_hi_u32_b32 v1, exec_hi, v1
	v_cmp_eq_u32_e32 vcc, 0, v1
	s_and_b64 exec, exec, vcc
	s_cbranch_execz .LBB9_301
; %bb.300:
	v_mov_b32_e32 v1, 0
	v_mov_b32_e32 v2, s18
	ds_or_b32 v1, v2 offset:16448
.LBB9_301:
	s_or_b64 exec, exec, s[16:17]
	v_mov_b32_e32 v1, 0
	s_waitcnt lgkmcnt(0)
	s_barrier
	ds_read_b32 v1, v1 offset:16448
	s_waitcnt lgkmcnt(0)
	s_barrier
.LBB9_302:
	v_cmp_eq_u32_e32 vcc, 0, v1
	s_cbranch_vccz .LBB9_320
; %bb.303:
	ds_read_b32 v1, v14 offset:4096
	s_waitcnt lgkmcnt(0)
	s_barrier
	ds_write_b32 v13, v1
	s_waitcnt lgkmcnt(0)
	s_barrier
	s_and_saveexec_b64 s[16:17], s[14:15]
	s_cbranch_execz .LBB9_305
; %bb.304:
	ds_read2_b32 v[2:3], v12 offset1:1
	ds_read2_b32 v[6:7], v12 offset0:2 offset1:3
	ds_read2_b32 v[8:9], v12 offset0:4 offset1:5
	;; [unrolled: 1-line block ×7, first 2 shown]
	s_waitcnt lgkmcnt(7)
	v_add_u32_e32 v17, v3, v2
	s_waitcnt lgkmcnt(6)
	v_add3_u32 v17, v17, v6, v7
	s_waitcnt lgkmcnt(5)
	v_add3_u32 v17, v17, v8, v9
	;; [unrolled: 2-line block ×5, first 2 shown]
	v_mbcnt_lo_u32_b32 v19, -1, 0
	s_waitcnt lgkmcnt(1)
	v_add3_u32 v17, v17, v26, v27
	v_mbcnt_hi_u32_b32 v19, -1, v19
	s_waitcnt lgkmcnt(0)
	v_add3_u32 v17, v17, v28, v29
	v_and_b32_e32 v21, 15, v19
	v_cmp_ne_u32_e32 vcc, 0, v21
	v_mov_b32_dpp v30, v17 row_shr:1 row_mask:0xf bank_mask:0xf
	v_cndmask_b32_e32 v30, 0, v30, vcc
	v_add_u32_e32 v17, v30, v17
	v_cmp_lt_u32_e32 vcc, 1, v21
	s_nop 0
	v_mov_b32_dpp v30, v17 row_shr:2 row_mask:0xf bank_mask:0xf
	v_cndmask_b32_e32 v30, 0, v30, vcc
	v_add_u32_e32 v17, v17, v30
	v_cmp_lt_u32_e32 vcc, 3, v21
	s_nop 0
	;; [unrolled: 5-line block ×3, first 2 shown]
	v_mov_b32_dpp v30, v17 row_shr:8 row_mask:0xf bank_mask:0xf
	v_cndmask_b32_e32 v21, 0, v30, vcc
	v_add_u32_e32 v17, v17, v21
	v_bfe_i32 v30, v19, 4, 1
	v_cmp_lt_u32_e32 vcc, 31, v19
	v_mov_b32_dpp v21, v17 row_bcast:15 row_mask:0xf bank_mask:0xf
	v_and_b32_e32 v21, v30, v21
	v_add_u32_e32 v17, v17, v21
	v_and_b32_e32 v30, 64, v19
	s_nop 0
	v_mov_b32_dpp v21, v17 row_bcast:31 row_mask:0xf bank_mask:0xf
	v_cndmask_b32_e32 v21, 0, v21, vcc
	v_add_u32_e32 v17, v17, v21
	v_add_u32_e32 v21, -1, v19
	v_cmp_lt_i32_e32 vcc, v21, v30
	v_cndmask_b32_e32 v19, v21, v19, vcc
	v_lshlrev_b32_e32 v19, 2, v19
	ds_bpermute_b32 v17, v19, v17
	s_waitcnt lgkmcnt(0)
	v_add_u32_e32 v2, v17, v2
	v_cndmask_b32_e64 v1, v2, v1, s[2:3]
	v_add_u32_e32 v2, v1, v3
	ds_write2_b32 v12, v1, v2 offset1:1
	v_add_u32_e32 v1, v2, v6
	v_add_u32_e32 v2, v1, v7
	ds_write2_b32 v12, v1, v2 offset0:2 offset1:3
	v_add_u32_e32 v1, v2, v8
	v_add_u32_e32 v2, v1, v9
	ds_write2_b32 v12, v1, v2 offset0:4 offset1:5
	;; [unrolled: 3-line block ×7, first 2 shown]
.LBB9_305:
	s_or_b64 exec, exec, s[16:17]
	v_mov_b32_e32 v1, 0
	v_mov_b32_e32 v2, 0
	s_waitcnt lgkmcnt(0)
	s_barrier
	s_and_saveexec_b64 s[16:17], s[0:1]
	s_cbranch_execz .LBB9_307
; %bb.306:
	ds_read_b32 v2, v15
.LBB9_307:
	s_or_b64 exec, exec, s[16:17]
	ds_read_b32 v3, v1 offset:4216
	s_waitcnt lgkmcnt(1)
	v_add_u32_e32 v2, v2, v0
	v_cmp_gt_i32_e32 vcc, s42, v2
	ds_write_b32 v14, v2 offset:4096
	s_waitcnt lgkmcnt(0)
	s_barrier
	s_and_saveexec_b64 s[16:17], vcc
	s_cbranch_execz .LBB9_313
; %bb.308:
	v_add_u32_e32 v0, v3, v0
	s_and_saveexec_b64 s[18:19], s[34:35]
	s_cbranch_execz .LBB9_310
; %bb.309:
	ds_read_b32 v0, v14 offset:4100
.LBB9_310:
	s_or_b64 exec, exec, s[18:19]
	s_waitcnt lgkmcnt(0)
	v_cmp_le_i32_e32 vcc, s42, v0
	v_mov_b32_e32 v1, 0
	s_and_saveexec_b64 s[18:19], vcc
	s_cbranch_execz .LBB9_312
; %bb.311:
	s_movk_i32 s20, 0x4000
	v_or_b32_e32 v1, 0x400, v4
	v_sub_u32_e32 v0, v0, v2
	v_add_u32_e64 v2, s20, 0
	ds_write2_b32 v2, v0, v1 offset0:81 offset1:83
	v_mov_b32_e32 v1, 1
.LBB9_312:
	s_or_b64 exec, exec, s[18:19]
.LBB9_313:
	s_or_b64 exec, exec, s[16:17]
	v_or_b32_dpp v0, v1, v1 row_shl:1 row_mask:0xf bank_mask:0xf bound_ctrl:1
	s_and_b64 vcc, exec, s[4:5]
	s_nop 0
	v_or_b32_dpp v0, v0, v0 row_shl:2 row_mask:0xf bank_mask:0xf bound_ctrl:1
	s_nop 1
	v_or_b32_dpp v0, v0, v0 row_shl:4 row_mask:0xf bank_mask:0xf bound_ctrl:1
	;; [unrolled: 2-line block ×3, first 2 shown]
	s_nop 1
	v_mov_b32_dpp v1, v0 wave_shl:1 row_mask:0xf bank_mask:0xf bound_ctrl:1
	s_nop 1
	v_or_b32_dpp v0, v1, v0 row_mirror row_mask:0xf bank_mask:0xf bound_ctrl:1
	v_readlane_b32 s16, v0, 32
	v_readlane_b32 s4, v0, 0
	s_cbranch_vccnz .LBB9_320
; %bb.314:
	v_mbcnt_lo_u32_b32 v0, -1, 0
	s_bitcmp1_b32 exec_hi, 0
	v_mbcnt_hi_u32_b32 v0, -1, v0
	s_cselect_b32 s5, s16, 0
	v_or_b32_e32 v1, v0, v16
	s_or_b32 s16, s5, s4
	v_cmp_eq_u32_e32 vcc, 0, v1
	s_and_saveexec_b64 s[4:5], vcc
	s_cbranch_execz .LBB9_316
; %bb.315:
	v_mov_b32_e32 v1, 0
	v_mov_b32_e32 v2, s16
	ds_write_b32 v1, v2 offset:16448
.LBB9_316:
	s_or_b64 exec, exec, s[4:5]
	v_cmp_eq_u32_e32 vcc, 0, v0
	s_and_b64 s[18:19], s[8:9], vcc
	s_waitcnt lgkmcnt(0)
	s_barrier
	s_and_saveexec_b64 s[4:5], s[18:19]
	s_cbranch_execz .LBB9_319
; %bb.317:
	v_mbcnt_lo_u32_b32 v0, exec_lo, 0
	v_mbcnt_hi_u32_b32 v0, exec_hi, v0
	v_cmp_eq_u32_e32 vcc, 0, v0
	s_and_b64 exec, exec, vcc
	s_cbranch_execz .LBB9_319
; %bb.318:
	v_mov_b32_e32 v0, 0
	v_mov_b32_e32 v1, s16
	ds_or_b32 v0, v1 offset:16448
.LBB9_319:
	s_or_b64 exec, exec, s[4:5]
	v_mov_b32_e32 v0, 0
	s_waitcnt lgkmcnt(0)
	s_barrier
	ds_read_b32 v0, v0 offset:16448
	s_waitcnt lgkmcnt(0)
	s_barrier
.LBB9_320:
	v_mov_b32_e32 v0, 0
	s_waitcnt lgkmcnt(0)
	s_barrier
	ds_read_b32 v17, v0 offset:16716
	s_and_b64 vcc, exec, s[10:11]
	s_mov_b64 s[4:5], -1
	s_cbranch_vccnz .LBB9_334
; %bb.321:
	v_cmp_gt_i32_e32 vcc, s62, v4
	s_and_saveexec_b64 s[4:5], vcc
	s_cbranch_execz .LBB9_333
; %bb.322:
	v_mov_b32_e32 v6, 0
	ds_read_b32 v0, v6 offset:16708
	s_mul_i32 s20, s6, s7
	s_mul_hi_i32 s18, s6, s7
	s_mul_i32 s19, s20, s63
	s_mul_hi_u32 s21, s20, s42
	s_waitcnt lgkmcnt(0)
	v_readfirstlane_b32 s16, v0
	s_cmpk_lt_i32 s16, 0x801
	s_cselect_b64 s[16:17], -1, 0
	s_add_i32 s19, s21, s19
	s_mul_i32 s18, s18, s42
	s_add_i32 s19, s19, s18
	s_mul_i32 s18, s20, s42
	s_lshl_b64 s[18:19], s[18:19], 2
	s_add_u32 s18, s54, s18
	s_addc_u32 s19, s55, s19
	v_mov_b32_e32 v1, s19
	v_add_co_u32_e32 v0, vcc, s18, v20
	v_addc_co_u32_e32 v1, vcc, 0, v1, vcc
	v_mul_lo_u32 v2, v4, s41
	s_lshl_b32 s28, s41, 10
	s_mov_b64 s[18:19], 0
	v_mov_b32_e32 v7, s47
	s_mov_b32 s29, 0x200000
	v_mov_b32_e32 v8, 0x4150
	v_mov_b32_e32 v9, v4
	s_branch .LBB9_325
.LBB9_323:                              ;   in Loop: Header=BB9_325 Depth=1
	s_or_b64 exec, exec, s[22:23]
	global_load_dword v19, v[0:1], off
	s_waitcnt lgkmcnt(0)
	v_readfirstlane_b32 s22, v11
	v_add_lshl_u32 v10, s22, v10, 2
	s_waitcnt vmcnt(0)
	ds_write2st64_b32 v10, v19, v3 offset1:32
.LBB9_324:                              ;   in Loop: Header=BB9_325 Depth=1
	s_or_b64 exec, exec, s[20:21]
	v_add_co_u32_e32 v0, vcc, 0x1000, v0
	v_add_u32_e32 v9, 0x400, v9
	v_addc_co_u32_e32 v1, vcc, 0, v1, vcc
	v_cmp_le_i32_e32 vcc, s62, v9
	s_or_b64 s[18:19], vcc, s[18:19]
	v_add_u32_e32 v2, s28, v2
	s_andn2_b64 exec, exec, s[18:19]
	s_cbranch_execz .LBB9_333
.LBB9_325:                              ; =>This Inner Loop Header: Depth=1
	v_ashrrev_i32_e32 v3, 31, v2
	v_lshlrev_b64 v[10:11], 2, v[2:3]
	v_add_co_u32_e32 v10, vcc, s46, v10
	v_addc_co_u32_e32 v11, vcc, v7, v11, vcc
	global_load_dword v3, v[10:11], off
	s_waitcnt vmcnt(0)
	v_not_b32_e32 v10, v3
	v_and_b32_e32 v11, 0x7fe00000, v10
	v_cmp_gt_i32_e32 vcc, 0, v3
	v_cndmask_b32_e32 v11, v11, v3, vcc
	v_xor_b32_e32 v11, v11, v18
	v_cmp_gt_u32_e32 vcc, s29, v11
	s_and_saveexec_b64 s[20:21], vcc
	s_cbranch_execz .LBB9_324
; %bb.326:                              ;   in Loop: Header=BB9_325 Depth=1
	v_lshrrev_b32_e32 v11, 10, v3
	v_ashrrev_i32_e32 v10, 31, v10
	v_xor_b32_e32 v10, v11, v10
	v_and_b32_e32 v10, 0x7ff, v10
	v_cmp_lt_u32_e32 vcc, v10, v17
	s_and_saveexec_b64 s[22:23], vcc
	s_cbranch_execz .LBB9_330
; %bb.327:                              ;   in Loop: Header=BB9_325 Depth=1
	s_mov_b64 s[26:27], exec
	v_mbcnt_lo_u32_b32 v11, s26, 0
	v_mbcnt_hi_u32_b32 v11, s27, v11
	v_cmp_eq_u32_e32 vcc, 0, v11
                                        ; implicit-def: $vgpr19
	s_and_saveexec_b64 s[24:25], vcc
	s_cbranch_execz .LBB9_329
; %bb.328:                              ;   in Loop: Header=BB9_325 Depth=1
	s_bcnt1_i32_b64 s26, s[26:27]
	v_mov_b32_e32 v19, s26
	ds_add_rtn_u32 v19, v6, v19 offset:16712
.LBB9_329:                              ;   in Loop: Header=BB9_325 Depth=1
	s_or_b64 exec, exec, s[24:25]
	global_load_dword v21, v[0:1], off
	s_waitcnt lgkmcnt(0)
	v_readfirstlane_b32 s24, v19
	v_add_u32_e32 v11, s24, v11
	v_lshl_add_u32 v11, v11, 2, v8
	s_waitcnt vmcnt(0)
	ds_write_b32 v11, v21
.LBB9_330:                              ;   in Loop: Header=BB9_325 Depth=1
	s_or_b64 exec, exec, s[22:23]
	v_cmp_eq_u32_e32 vcc, v10, v17
	s_and_b64 s[22:23], vcc, s[16:17]
	s_and_b64 exec, exec, s[22:23]
	s_cbranch_execz .LBB9_324
; %bb.331:                              ;   in Loop: Header=BB9_325 Depth=1
	s_mov_b64 s[24:25], exec
	v_mbcnt_lo_u32_b32 v10, s24, 0
	v_mbcnt_hi_u32_b32 v10, s25, v10
	v_cmp_eq_u32_e32 vcc, 0, v10
                                        ; implicit-def: $vgpr11
	s_and_saveexec_b64 s[22:23], vcc
	s_cbranch_execz .LBB9_323
; %bb.332:                              ;   in Loop: Header=BB9_325 Depth=1
	s_bcnt1_i32_b64 s24, s[24:25]
	v_mov_b32_e32 v11, s24
	ds_add_rtn_u32 v11, v6, v11 offset:16704
	s_branch .LBB9_323
.LBB9_333:
	s_or_b64 exec, exec, s[4:5]
	s_mov_b64 s[4:5], 0
.LBB9_334:
	s_andn2_b64 vcc, exec, s[4:5]
	s_cbranch_vccnz .LBB9_395
; %bb.335:
	s_and_b32 s4, s46, 15
	s_sub_i32 s16, 16, s4
	s_mov_b32 s5, 0
	s_lshr_b32 s16, s16, 2
	s_cmp_lg_u64 s[4:5], 0
	s_cselect_b32 s4, s16, 0
	s_min_i32 s16, s4, s62
	s_sub_i32 s4, s62, s16
	s_ashr_i32 s5, s4, 31
	s_lshr_b32 s5, s5, 30
	s_add_i32 s4, s4, s5
	s_ashr_i32 s30, s4, 2
	v_mov_b32_e32 v10, 0
	s_mov_b64 s[18:19], 0
	s_ashr_i32 s17, s16, 31
	v_cmp_gt_i32_e32 vcc, s30, v4
	s_and_saveexec_b64 s[20:21], vcc
	s_cbranch_execz .LBB9_374
; %bb.336:
	ds_read_b32 v0, v10 offset:16708
	v_lshl_add_u32 v6, v4, 2, s16
	v_mov_b32_e32 v11, 0x4150
	v_mov_b32_e32 v19, v4
	s_waitcnt lgkmcnt(0)
	v_readfirstlane_b32 s4, v0
	s_cmpk_lt_i32 s4, 0x801
	s_cselect_b64 s[22:23], -1, 0
	s_add_u32 s31, s52, 4
	s_addc_u32 s36, s53, 0
	s_add_u32 s37, s52, 8
	s_addc_u32 s40, s53, 0
	;; [unrolled: 2-line block ×3, first 2 shown]
	s_lshl_b64 s[4:5], s[16:17], 2
	s_add_u32 s4, s48, s4
	s_addc_u32 s5, s49, s5
	s_add_u32 s4, s4, s50
	s_addc_u32 s5, s5, s51
	v_mov_b32_e32 v0, s5
	v_add_co_u32_e32 v1, vcc, s4, v5
	v_addc_co_u32_e32 v0, vcc, 0, v0, vcc
	v_add_co_u32_e32 v8, vcc, 8, v1
	v_addc_co_u32_e32 v9, vcc, 0, v0, vcc
	s_mov_b32 s17, 0x200000
	s_branch .LBB9_339
.LBB9_337:                              ;   in Loop: Header=BB9_339 Depth=1
	s_or_b64 exec, exec, s[24:25]
	v_ashrrev_i32_e32 v7, 31, v6
	v_lshlrev_b64 v[22:23], 2, v[6:7]
	v_mov_b32_e32 v2, s61
	v_add_co_u32_e32 v22, vcc, s60, v22
	v_addc_co_u32_e32 v23, vcc, v2, v23, vcc
	global_load_dword v2, v[22:23], off
	s_waitcnt lgkmcnt(0)
	v_readfirstlane_b32 s24, v1
	v_add_lshl_u32 v0, s24, v0, 2
	s_waitcnt vmcnt(0)
	ds_write2st64_b32 v0, v2, v3 offset1:32
.LBB9_338:                              ;   in Loop: Header=BB9_339 Depth=1
	s_or_b64 exec, exec, s[4:5]
	v_add_u32_e32 v19, 0x400, v19
	v_add_co_u32_e32 v8, vcc, 0x4000, v8
	v_cmp_le_i32_e64 s[4:5], s30, v19
	v_add_u32_e32 v6, 0x1000, v6
	s_or_b64 s[18:19], s[4:5], s[18:19]
	v_addc_co_u32_e32 v9, vcc, 0, v9, vcc
	s_andn2_b64 exec, exec, s[18:19]
	s_cbranch_execz .LBB9_374
.LBB9_339:                              ; =>This Inner Loop Header: Depth=1
	global_load_dwordx4 v[0:3], v[8:9], off offset:-8
	s_waitcnt vmcnt(0)
	v_not_b32_e32 v7, v0
	v_and_b32_e32 v21, 0x7fe00000, v7
	v_cmp_gt_i32_e32 vcc, 0, v0
	v_cndmask_b32_e32 v21, v21, v0, vcc
	v_xor_b32_e32 v21, v21, v18
	v_cmp_gt_u32_e32 vcc, s17, v21
	s_and_saveexec_b64 s[4:5], vcc
	s_cbranch_execz .LBB9_348
; %bb.340:                              ;   in Loop: Header=BB9_339 Depth=1
	v_lshrrev_b32_e32 v21, 10, v0
	v_ashrrev_i32_e32 v7, 31, v7
	v_xor_b32_e32 v7, v21, v7
	v_and_b32_e32 v21, 0x7ff, v7
	v_cmp_lt_u32_e32 vcc, v21, v17
	s_and_saveexec_b64 s[24:25], vcc
	s_cbranch_execz .LBB9_344
; %bb.341:                              ;   in Loop: Header=BB9_339 Depth=1
	s_mov_b64 s[28:29], exec
	v_mbcnt_lo_u32_b32 v7, s28, 0
	v_mbcnt_hi_u32_b32 v22, s29, v7
	v_cmp_eq_u32_e32 vcc, 0, v22
                                        ; implicit-def: $vgpr23
	s_and_saveexec_b64 s[26:27], vcc
	s_cbranch_execz .LBB9_343
; %bb.342:                              ;   in Loop: Header=BB9_339 Depth=1
	s_bcnt1_i32_b64 s28, s[28:29]
	v_mov_b32_e32 v7, s28
	ds_add_rtn_u32 v23, v10, v7 offset:16712
.LBB9_343:                              ;   in Loop: Header=BB9_339 Depth=1
	s_or_b64 exec, exec, s[26:27]
	v_ashrrev_i32_e32 v7, 31, v6
	v_lshlrev_b64 v[24:25], 2, v[6:7]
	v_mov_b32_e32 v7, s53
	v_add_co_u32_e32 v24, vcc, s52, v24
	v_addc_co_u32_e32 v25, vcc, v7, v25, vcc
	global_load_dword v7, v[24:25], off
	s_waitcnt lgkmcnt(0)
	v_readfirstlane_b32 s26, v23
	v_add_u32_e32 v22, s26, v22
	v_lshl_add_u32 v22, v22, 2, v11
	s_waitcnt vmcnt(0)
	ds_write_b32 v22, v7
.LBB9_344:                              ;   in Loop: Header=BB9_339 Depth=1
	s_or_b64 exec, exec, s[24:25]
	v_cmp_eq_u32_e32 vcc, v21, v17
	s_and_b64 s[24:25], vcc, s[22:23]
	s_and_b64 exec, exec, s[24:25]
	s_cbranch_execz .LBB9_348
; %bb.345:                              ;   in Loop: Header=BB9_339 Depth=1
	s_mov_b64 s[26:27], exec
	v_mbcnt_lo_u32_b32 v7, s26, 0
	v_mbcnt_hi_u32_b32 v21, s27, v7
	v_cmp_eq_u32_e32 vcc, 0, v21
                                        ; implicit-def: $vgpr22
	s_and_saveexec_b64 s[24:25], vcc
	s_cbranch_execz .LBB9_347
; %bb.346:                              ;   in Loop: Header=BB9_339 Depth=1
	s_bcnt1_i32_b64 s26, s[26:27]
	v_mov_b32_e32 v7, s26
	ds_add_rtn_u32 v22, v10, v7 offset:16704
.LBB9_347:                              ;   in Loop: Header=BB9_339 Depth=1
	s_or_b64 exec, exec, s[24:25]
	v_ashrrev_i32_e32 v7, 31, v6
	v_lshlrev_b64 v[24:25], 2, v[6:7]
	v_mov_b32_e32 v7, s53
	v_add_co_u32_e32 v24, vcc, s52, v24
	v_addc_co_u32_e32 v25, vcc, v7, v25, vcc
	global_load_dword v7, v[24:25], off
	s_waitcnt lgkmcnt(0)
	v_readfirstlane_b32 s24, v22
	v_add_lshl_u32 v21, s24, v21, 2
	s_waitcnt vmcnt(0)
	ds_write2st64_b32 v21, v7, v0 offset1:32
.LBB9_348:                              ;   in Loop: Header=BB9_339 Depth=1
	s_or_b64 exec, exec, s[4:5]
	v_not_b32_e32 v0, v1
	v_and_b32_e32 v7, 0x7fe00000, v0
	v_cmp_gt_i32_e32 vcc, 0, v1
	v_cndmask_b32_e32 v7, v7, v1, vcc
	v_xor_b32_e32 v7, v7, v18
	v_cmp_gt_u32_e32 vcc, s17, v7
	s_and_saveexec_b64 s[4:5], vcc
	s_cbranch_execz .LBB9_357
; %bb.349:                              ;   in Loop: Header=BB9_339 Depth=1
	v_lshrrev_b32_e32 v7, 10, v1
	v_ashrrev_i32_e32 v0, 31, v0
	v_xor_b32_e32 v0, v7, v0
	v_and_b32_e32 v0, 0x7ff, v0
	v_cmp_lt_u32_e32 vcc, v0, v17
	s_and_saveexec_b64 s[24:25], vcc
	s_cbranch_execz .LBB9_353
; %bb.350:                              ;   in Loop: Header=BB9_339 Depth=1
	s_mov_b64 s[28:29], exec
	v_mbcnt_lo_u32_b32 v7, s28, 0
	v_mbcnt_hi_u32_b32 v21, s29, v7
	v_cmp_eq_u32_e32 vcc, 0, v21
                                        ; implicit-def: $vgpr22
	s_and_saveexec_b64 s[26:27], vcc
	s_cbranch_execz .LBB9_352
; %bb.351:                              ;   in Loop: Header=BB9_339 Depth=1
	s_bcnt1_i32_b64 s28, s[28:29]
	v_mov_b32_e32 v7, s28
	ds_add_rtn_u32 v22, v10, v7 offset:16712
.LBB9_352:                              ;   in Loop: Header=BB9_339 Depth=1
	s_or_b64 exec, exec, s[26:27]
	v_ashrrev_i32_e32 v7, 31, v6
	v_lshlrev_b64 v[24:25], 2, v[6:7]
	v_mov_b32_e32 v7, s36
	v_add_co_u32_e32 v24, vcc, s31, v24
	v_addc_co_u32_e32 v25, vcc, v7, v25, vcc
	global_load_dword v7, v[24:25], off
	s_waitcnt lgkmcnt(0)
	v_readfirstlane_b32 s26, v22
	v_add_u32_e32 v21, s26, v21
	v_lshl_add_u32 v21, v21, 2, v11
	s_waitcnt vmcnt(0)
	ds_write_b32 v21, v7
.LBB9_353:                              ;   in Loop: Header=BB9_339 Depth=1
	s_or_b64 exec, exec, s[24:25]
	v_cmp_eq_u32_e32 vcc, v0, v17
	s_and_b64 s[24:25], vcc, s[22:23]
	s_and_b64 exec, exec, s[24:25]
	s_cbranch_execz .LBB9_357
; %bb.354:                              ;   in Loop: Header=BB9_339 Depth=1
	s_mov_b64 s[26:27], exec
	v_mbcnt_lo_u32_b32 v0, s26, 0
	v_mbcnt_hi_u32_b32 v0, s27, v0
	v_cmp_eq_u32_e32 vcc, 0, v0
                                        ; implicit-def: $vgpr21
	s_and_saveexec_b64 s[24:25], vcc
	s_cbranch_execz .LBB9_356
; %bb.355:                              ;   in Loop: Header=BB9_339 Depth=1
	s_bcnt1_i32_b64 s26, s[26:27]
	v_mov_b32_e32 v7, s26
	ds_add_rtn_u32 v21, v10, v7 offset:16704
.LBB9_356:                              ;   in Loop: Header=BB9_339 Depth=1
	s_or_b64 exec, exec, s[24:25]
	v_ashrrev_i32_e32 v7, 31, v6
	v_lshlrev_b64 v[22:23], 2, v[6:7]
	v_mov_b32_e32 v7, s36
	v_add_co_u32_e32 v22, vcc, s31, v22
	v_addc_co_u32_e32 v23, vcc, v7, v23, vcc
	global_load_dword v7, v[22:23], off
	s_waitcnt lgkmcnt(0)
	v_readfirstlane_b32 s24, v21
	v_add_lshl_u32 v0, s24, v0, 2
	s_waitcnt vmcnt(0)
	ds_write2st64_b32 v0, v7, v1 offset1:32
.LBB9_357:                              ;   in Loop: Header=BB9_339 Depth=1
	s_or_b64 exec, exec, s[4:5]
	v_not_b32_e32 v0, v2
	v_and_b32_e32 v1, 0x7fe00000, v0
	v_cmp_gt_i32_e32 vcc, 0, v2
	v_cndmask_b32_e32 v1, v1, v2, vcc
	v_xor_b32_e32 v1, v1, v18
	v_cmp_gt_u32_e32 vcc, s17, v1
	s_and_saveexec_b64 s[4:5], vcc
	s_cbranch_execz .LBB9_366
; %bb.358:                              ;   in Loop: Header=BB9_339 Depth=1
	v_lshrrev_b32_e32 v1, 10, v2
	v_ashrrev_i32_e32 v0, 31, v0
	v_xor_b32_e32 v0, v1, v0
	v_and_b32_e32 v0, 0x7ff, v0
	v_cmp_lt_u32_e32 vcc, v0, v17
	s_and_saveexec_b64 s[24:25], vcc
	s_cbranch_execz .LBB9_362
; %bb.359:                              ;   in Loop: Header=BB9_339 Depth=1
	s_mov_b64 s[28:29], exec
	v_mbcnt_lo_u32_b32 v1, s28, 0
	v_mbcnt_hi_u32_b32 v1, s29, v1
	v_cmp_eq_u32_e32 vcc, 0, v1
                                        ; implicit-def: $vgpr21
	s_and_saveexec_b64 s[26:27], vcc
	s_cbranch_execz .LBB9_361
; %bb.360:                              ;   in Loop: Header=BB9_339 Depth=1
	s_bcnt1_i32_b64 s28, s[28:29]
	v_mov_b32_e32 v7, s28
	ds_add_rtn_u32 v21, v10, v7 offset:16712
.LBB9_361:                              ;   in Loop: Header=BB9_339 Depth=1
	s_or_b64 exec, exec, s[26:27]
	v_ashrrev_i32_e32 v7, 31, v6
	v_lshlrev_b64 v[22:23], 2, v[6:7]
	v_mov_b32_e32 v7, s40
	v_add_co_u32_e32 v22, vcc, s37, v22
	v_addc_co_u32_e32 v23, vcc, v7, v23, vcc
	global_load_dword v7, v[22:23], off
	s_waitcnt lgkmcnt(0)
	v_readfirstlane_b32 s26, v21
	v_add_u32_e32 v1, s26, v1
	v_lshl_add_u32 v1, v1, 2, v11
	s_waitcnt vmcnt(0)
	ds_write_b32 v1, v7
.LBB9_362:                              ;   in Loop: Header=BB9_339 Depth=1
	s_or_b64 exec, exec, s[24:25]
	v_cmp_eq_u32_e32 vcc, v0, v17
	s_and_b64 s[24:25], vcc, s[22:23]
	s_and_b64 exec, exec, s[24:25]
	s_cbranch_execz .LBB9_366
; %bb.363:                              ;   in Loop: Header=BB9_339 Depth=1
	s_mov_b64 s[26:27], exec
	v_mbcnt_lo_u32_b32 v0, s26, 0
	v_mbcnt_hi_u32_b32 v0, s27, v0
	v_cmp_eq_u32_e32 vcc, 0, v0
                                        ; implicit-def: $vgpr1
	s_and_saveexec_b64 s[24:25], vcc
	s_cbranch_execz .LBB9_365
; %bb.364:                              ;   in Loop: Header=BB9_339 Depth=1
	s_bcnt1_i32_b64 s26, s[26:27]
	v_mov_b32_e32 v1, s26
	ds_add_rtn_u32 v1, v10, v1 offset:16704
.LBB9_365:                              ;   in Loop: Header=BB9_339 Depth=1
	s_or_b64 exec, exec, s[24:25]
	v_ashrrev_i32_e32 v7, 31, v6
	v_lshlrev_b64 v[22:23], 2, v[6:7]
	v_mov_b32_e32 v7, s40
	v_add_co_u32_e32 v22, vcc, s37, v22
	v_addc_co_u32_e32 v23, vcc, v7, v23, vcc
	global_load_dword v7, v[22:23], off
	s_waitcnt lgkmcnt(0)
	v_readfirstlane_b32 s24, v1
	v_add_lshl_u32 v0, s24, v0, 2
	s_waitcnt vmcnt(0)
	ds_write2st64_b32 v0, v7, v2 offset1:32
.LBB9_366:                              ;   in Loop: Header=BB9_339 Depth=1
	s_or_b64 exec, exec, s[4:5]
	v_not_b32_e32 v0, v3
	v_and_b32_e32 v1, 0x7fe00000, v0
	v_cmp_gt_i32_e32 vcc, 0, v3
	v_cndmask_b32_e32 v1, v1, v3, vcc
	v_xor_b32_e32 v1, v1, v18
	v_cmp_gt_u32_e32 vcc, s17, v1
	s_and_saveexec_b64 s[4:5], vcc
	s_cbranch_execz .LBB9_338
; %bb.367:                              ;   in Loop: Header=BB9_339 Depth=1
	v_lshrrev_b32_e32 v1, 10, v3
	v_ashrrev_i32_e32 v0, 31, v0
	v_xor_b32_e32 v0, v1, v0
	v_and_b32_e32 v0, 0x7ff, v0
	v_cmp_lt_u32_e32 vcc, v0, v17
	s_and_saveexec_b64 s[24:25], vcc
	s_cbranch_execz .LBB9_371
; %bb.368:                              ;   in Loop: Header=BB9_339 Depth=1
	s_mov_b64 s[28:29], exec
	v_mbcnt_lo_u32_b32 v1, s28, 0
	v_mbcnt_hi_u32_b32 v1, s29, v1
	v_cmp_eq_u32_e32 vcc, 0, v1
                                        ; implicit-def: $vgpr2
	s_and_saveexec_b64 s[26:27], vcc
	s_cbranch_execz .LBB9_370
; %bb.369:                              ;   in Loop: Header=BB9_339 Depth=1
	s_bcnt1_i32_b64 s28, s[28:29]
	v_mov_b32_e32 v2, s28
	ds_add_rtn_u32 v2, v10, v2 offset:16712
.LBB9_370:                              ;   in Loop: Header=BB9_339 Depth=1
	s_or_b64 exec, exec, s[26:27]
	v_ashrrev_i32_e32 v7, 31, v6
	v_lshlrev_b64 v[22:23], 2, v[6:7]
	v_mov_b32_e32 v7, s61
	v_add_co_u32_e32 v22, vcc, s60, v22
	v_addc_co_u32_e32 v23, vcc, v7, v23, vcc
	global_load_dword v7, v[22:23], off
	s_waitcnt lgkmcnt(0)
	v_readfirstlane_b32 s26, v2
	v_add_u32_e32 v1, s26, v1
	v_lshl_add_u32 v1, v1, 2, v11
	s_waitcnt vmcnt(0)
	ds_write_b32 v1, v7
.LBB9_371:                              ;   in Loop: Header=BB9_339 Depth=1
	s_or_b64 exec, exec, s[24:25]
	v_cmp_eq_u32_e32 vcc, v0, v17
	s_and_b64 s[24:25], vcc, s[22:23]
	s_and_b64 exec, exec, s[24:25]
	s_cbranch_execz .LBB9_338
; %bb.372:                              ;   in Loop: Header=BB9_339 Depth=1
	s_mov_b64 s[26:27], exec
	v_mbcnt_lo_u32_b32 v0, s26, 0
	v_mbcnt_hi_u32_b32 v0, s27, v0
	v_cmp_eq_u32_e32 vcc, 0, v0
                                        ; implicit-def: $vgpr1
	s_and_saveexec_b64 s[24:25], vcc
	s_cbranch_execz .LBB9_337
; %bb.373:                              ;   in Loop: Header=BB9_339 Depth=1
	s_bcnt1_i32_b64 s26, s[26:27]
	v_mov_b32_e32 v1, s26
	ds_add_rtn_u32 v1, v10, v1 offset:16704
	s_branch .LBB9_337
.LBB9_374:
	s_or_b64 exec, exec, s[20:21]
	v_cmp_gt_u32_e32 vcc, s16, v4
	s_and_saveexec_b64 s[4:5], vcc
	s_cbranch_execz .LBB9_384
; %bb.375:
	global_load_dword v0, v20, s[46:47]
	s_mov_b32 s17, 0x200000
	s_waitcnt vmcnt(0)
	v_not_b32_e32 v1, v0
	v_and_b32_e32 v2, 0x7fe00000, v1
	v_cmp_gt_i32_e32 vcc, 0, v0
	v_cndmask_b32_e32 v2, v2, v0, vcc
	v_xor_b32_e32 v2, v2, v18
	v_cmp_gt_u32_e32 vcc, s17, v2
	s_and_b64 exec, exec, vcc
	s_cbranch_execz .LBB9_384
; %bb.376:
	v_lshrrev_b32_e32 v2, 10, v0
	v_ashrrev_i32_e32 v1, 31, v1
	v_xor_b32_e32 v1, v2, v1
	v_and_b32_e32 v1, 0x7ff, v1
	s_waitcnt lgkmcnt(0)
	v_cmp_lt_u32_e32 vcc, v1, v17
	s_and_saveexec_b64 s[18:19], vcc
	s_cbranch_execz .LBB9_380
; %bb.377:
	s_mov_b64 s[22:23], exec
	v_mbcnt_lo_u32_b32 v2, s22, 0
	v_mbcnt_hi_u32_b32 v2, s23, v2
	v_cmp_eq_u32_e32 vcc, 0, v2
                                        ; implicit-def: $vgpr3
	s_and_saveexec_b64 s[20:21], vcc
	s_cbranch_execz .LBB9_379
; %bb.378:
	s_bcnt1_i32_b64 s17, s[22:23]
	v_mov_b32_e32 v3, 0
	v_mov_b32_e32 v6, s17
	ds_add_rtn_u32 v3, v3, v6 offset:16712
.LBB9_379:
	s_or_b64 exec, exec, s[20:21]
	global_load_dword v6, v20, s[52:53]
	s_waitcnt lgkmcnt(0)
	v_readfirstlane_b32 s17, v3
	v_add_u32_e32 v2, s17, v2
	v_mov_b32_e32 v3, 0x4150
	v_lshl_add_u32 v2, v2, 2, v3
	s_waitcnt vmcnt(0)
	ds_write_b32 v2, v6
.LBB9_380:
	s_or_b64 exec, exec, s[18:19]
	v_mov_b32_e32 v2, 0
	ds_read_b32 v2, v2 offset:16708
	v_cmp_eq_u32_e32 vcc, v1, v17
	s_waitcnt lgkmcnt(0)
	v_readfirstlane_b32 s17, v2
	s_cmpk_lt_i32 s17, 0x801
	s_cselect_b64 s[18:19], -1, 0
	s_and_b64 s[18:19], vcc, s[18:19]
	s_and_b64 exec, exec, s[18:19]
	s_cbranch_execz .LBB9_384
; %bb.381:
	s_mov_b64 s[20:21], exec
	v_mbcnt_lo_u32_b32 v1, s20, 0
	v_mbcnt_hi_u32_b32 v1, s21, v1
	v_cmp_eq_u32_e32 vcc, 0, v1
                                        ; implicit-def: $vgpr2
	s_and_saveexec_b64 s[18:19], vcc
	s_cbranch_execz .LBB9_383
; %bb.382:
	s_bcnt1_i32_b64 s17, s[20:21]
	v_mov_b32_e32 v2, 0
	v_mov_b32_e32 v3, s17
	ds_add_rtn_u32 v2, v2, v3 offset:16704
.LBB9_383:
	s_or_b64 exec, exec, s[18:19]
	global_load_dword v3, v20, s[52:53]
	s_waitcnt lgkmcnt(0)
	v_readfirstlane_b32 s17, v2
	v_add_lshl_u32 v1, s17, v1, 2
	s_waitcnt vmcnt(0)
	ds_write2st64_b32 v1, v3, v0 offset1:32
.LBB9_384:
	s_or_b64 exec, exec, s[4:5]
	s_lshl_b32 s4, s30, 2
	s_add_i32 s4, s4, s16
	v_add_u32_e32 v0, s4, v4
	v_cmp_gt_i32_e32 vcc, s62, v0
	s_and_saveexec_b64 s[4:5], vcc
	s_cbranch_execz .LBB9_394
; %bb.385:
	v_ashrrev_i32_e32 v1, 31, v0
	v_lshlrev_b64 v[0:1], 2, v[0:1]
	v_mov_b32_e32 v3, s47
	v_add_co_u32_e32 v2, vcc, s46, v0
	v_addc_co_u32_e32 v3, vcc, v3, v1, vcc
	global_load_dword v2, v[2:3], off
	s_mov_b32 s16, 0x200000
	s_waitcnt vmcnt(0)
	v_not_b32_e32 v3, v2
	v_and_b32_e32 v6, 0x7fe00000, v3
	v_cmp_gt_i32_e32 vcc, 0, v2
	v_cndmask_b32_e32 v6, v6, v2, vcc
	v_xor_b32_e32 v6, v6, v18
	v_cmp_gt_u32_e32 vcc, s16, v6
	s_and_b64 exec, exec, vcc
	s_cbranch_execz .LBB9_394
; %bb.386:
	v_lshrrev_b32_e32 v6, 10, v2
	v_ashrrev_i32_e32 v3, 31, v3
	v_xor_b32_e32 v3, v6, v3
	v_and_b32_e32 v3, 0x7ff, v3
	s_waitcnt lgkmcnt(0)
	v_cmp_lt_u32_e32 vcc, v3, v17
	s_and_saveexec_b64 s[16:17], vcc
	s_cbranch_execz .LBB9_390
; %bb.387:
	s_mov_b64 s[20:21], exec
	v_mbcnt_lo_u32_b32 v6, s20, 0
	v_mbcnt_hi_u32_b32 v6, s21, v6
	v_cmp_eq_u32_e32 vcc, 0, v6
                                        ; implicit-def: $vgpr7
	s_and_saveexec_b64 s[18:19], vcc
	s_cbranch_execz .LBB9_389
; %bb.388:
	s_bcnt1_i32_b64 s20, s[20:21]
	v_mov_b32_e32 v7, 0
	v_mov_b32_e32 v8, s20
	ds_add_rtn_u32 v7, v7, v8 offset:16712
.LBB9_389:
	s_or_b64 exec, exec, s[18:19]
	v_mov_b32_e32 v9, s53
	v_add_co_u32_e32 v8, vcc, s52, v0
	v_addc_co_u32_e32 v9, vcc, v9, v1, vcc
	global_load_dword v8, v[8:9], off
	s_waitcnt lgkmcnt(0)
	v_readfirstlane_b32 s18, v7
	v_add_u32_e32 v6, s18, v6
	v_mov_b32_e32 v7, 0x4150
	v_lshl_add_u32 v6, v6, 2, v7
	s_waitcnt vmcnt(0)
	ds_write_b32 v6, v8
.LBB9_390:
	s_or_b64 exec, exec, s[16:17]
	v_mov_b32_e32 v6, 0
	ds_read_b32 v6, v6 offset:16708
	v_cmp_eq_u32_e32 vcc, v3, v17
	s_waitcnt lgkmcnt(0)
	v_readfirstlane_b32 s16, v6
	s_cmpk_lt_i32 s16, 0x801
	s_cselect_b64 s[16:17], -1, 0
	s_and_b64 s[16:17], vcc, s[16:17]
	s_and_b64 exec, exec, s[16:17]
	s_cbranch_execz .LBB9_394
; %bb.391:
	s_mov_b64 s[18:19], exec
	v_mbcnt_lo_u32_b32 v3, s18, 0
	v_mbcnt_hi_u32_b32 v3, s19, v3
	v_cmp_eq_u32_e32 vcc, 0, v3
                                        ; implicit-def: $vgpr6
	s_and_saveexec_b64 s[16:17], vcc
	s_cbranch_execz .LBB9_393
; %bb.392:
	s_bcnt1_i32_b64 s18, s[18:19]
	v_mov_b32_e32 v6, 0
	v_mov_b32_e32 v7, s18
	ds_add_rtn_u32 v6, v6, v7 offset:16704
.LBB9_393:
	s_or_b64 exec, exec, s[16:17]
	v_mov_b32_e32 v7, s53
	v_add_co_u32_e32 v0, vcc, s52, v0
	v_addc_co_u32_e32 v1, vcc, v7, v1, vcc
	global_load_dword v0, v[0:1], off
	s_waitcnt lgkmcnt(0)
	v_readfirstlane_b32 s16, v6
	v_add_lshl_u32 v1, s16, v3, 2
	s_waitcnt vmcnt(0)
	ds_write2st64_b32 v1, v0, v2 offset1:32
.LBB9_394:
	s_or_b64 exec, exec, s[4:5]
.LBB9_395:
	v_mov_b32_e32 v0, 0
	s_waitcnt lgkmcnt(0)
	s_barrier
	ds_read_b32 v0, v0 offset:16708
	s_movk_i32 s4, 0x800
	s_waitcnt lgkmcnt(0)
	v_cmp_lt_i32_e64 s[4:5], s4, v0
	s_andn2_b64 vcc, exec, s[4:5]
	s_mov_b64 s[4:5], -1
	s_cbranch_vccz .LBB9_419
.LBB9_396:
	v_mov_b32_e32 v0, 0
	ds_read_b32 v6, v0 offset:16704
	s_mov_b32 s4, 0xff7fffff
	s_mov_b32 s5, s4
	v_pk_mov_b32 v[2:3], s[4:5], s[4:5] op_sel:[0,1]
                                        ; implicit-def: $vgpr0_vgpr1
	s_waitcnt lgkmcnt(0)
	v_cmp_lt_i32_e32 vcc, v4, v6
	s_and_saveexec_b64 s[4:5], vcc
	s_cbranch_execz .LBB9_398
; %bb.397:
	ds_read2st64_b32 v[0:1], v20 offset1:32
	v_mov_b32_e32 v3, 0xff7fffff
	s_waitcnt lgkmcnt(0)
	v_mov_b32_e32 v2, v1
.LBB9_398:
	s_or_b64 exec, exec, s[4:5]
	v_or_b32_e32 v7, 0x400, v4
	v_cmp_lt_i32_e32 vcc, v7, v6
	s_and_saveexec_b64 s[4:5], vcc
	s_cbranch_execz .LBB9_400
; %bb.399:
	ds_read_b32 v3, v20 offset:12288
	ds_read_b32 v1, v20 offset:4096
.LBB9_400:
	s_or_b64 exec, exec, s[4:5]
	v_bfrev_b32_e32 v19, -2
	v_cmp_gt_i32_e32 vcc, 0, v2
	v_cndmask_b32_e64 v6, v19, 0, vcc
	s_waitcnt lgkmcnt(1)
	v_cmp_gt_i32_e32 vcc, 0, v3
	v_xor_b32_e32 v2, v6, v2
	v_cndmask_b32_e64 v6, v19, 0, vcc
	v_xor_b32_e32 v3, v6, v3
	v_mbcnt_lo_u32_b32 v6, -1, 0
	v_mbcnt_hi_u32_b32 v6, -1, v6
	v_lshrrev_b32_e32 v7, 1, v6
	v_and_b32_e32 v9, 64, v6
	v_or_b32_e32 v7, v7, v9
	v_lshlrev_b32_e32 v7, 2, v7
	v_xor_b32_e32 v21, 0x80, v7
	ds_bpermute_b32 v10, v7, v2
	ds_bpermute_b32 v11, v7, v3
	;; [unrolled: 1-line block ×5, first 2 shown]
	s_waitcnt lgkmcnt(5)
	ds_bpermute_b32 v7, v7, v1
	v_and_b32_e32 v8, 1, v6
	ds_bpermute_b32 v23, v21, v0
	ds_bpermute_b32 v21, v21, v1
	v_cmp_eq_u32_e32 vcc, 0, v8
	s_waitcnt lgkmcnt(4)
	v_cndmask_b32_e32 v1, v3, v2, vcc
	s_waitcnt lgkmcnt(2)
	v_cndmask_b32_e32 v2, v7, v22, vcc
	v_and_b32_e32 v7, 15, v6
	v_cmp_eq_u32_e64 s[4:5], 0, v7
	v_cmp_lt_u32_e64 s[16:17], 1, v7
	v_cmp_lt_u32_e64 s[18:19], 3, v7
	;; [unrolled: 1-line block ×3, first 2 shown]
	v_and_b32_e32 v7, 16, v6
	v_cmp_eq_u32_e64 s[22:23], 0, v7
	v_and_b32_e32 v7, 63, v4
	v_cmp_eq_u32_e64 s[26:27], 63, v7
	v_add_u32_e32 v7, -1, v6
	v_cndmask_b32_e32 v0, v11, v10, vcc
	s_waitcnt lgkmcnt(0)
	v_cndmask_b32_e32 v3, v21, v23, vcc
	v_cmp_lt_i32_e32 vcc, v7, v9
	v_cndmask_b32_e32 v7, v7, v6, vcc
	v_lshlrev_b32_e32 v22, 2, v7
	v_lshrrev_b32_e32 v7, 4, v4
	s_mov_b32 s60, 0
	v_and_b32_e32 v23, 60, v7
	v_lshlrev_b32_e32 v7, 1, v4
	s_movk_i32 s36, 0x780
	v_cmp_lt_u32_e64 s[24:25], 31, v6
	v_cmp_eq_u32_e64 s[30:31], 0, v6
	v_and_or_b32 v6, v7, s36, v6
	s_mov_b32 s61, s60
	s_mov_b32 s36, s60
	;; [unrolled: 1-line block ×3, first 2 shown]
	v_cmp_gt_u32_e64 s[28:29], 16, v4
	v_mul_i32_i24_e32 v21, -12, v4
	v_add_u32_e32 v24, -4, v23
	v_lshlrev_b32_e32 v25, 2, v6
	v_pk_mov_b32 v[6:7], s[60:61], s[60:61] op_sel:[0,1]
	v_pk_mov_b32 v[8:9], s[36:37], s[36:37] op_sel:[0,1]
	s_brev_b32 s40, 1
	v_mov_b32_e32 v10, 0
	s_barrier
	s_barrier
	s_branch .LBB9_402
.LBB9_401:                              ;   in Loop: Header=BB9_402 Depth=1
	v_lshlrev_b32_e32 v2, 2, v30
	v_lshlrev_b32_e32 v3, 2, v11
	s_barrier
	ds_write_b32 v2, v29
	ds_write_b32 v3, v28
	s_waitcnt lgkmcnt(0)
	s_barrier
	ds_read2st64_b32 v[0:1], v25 offset1:1
	s_waitcnt lgkmcnt(0)
	s_barrier
	ds_write_b32 v2, v27
	ds_write_b32 v3, v26
	s_waitcnt lgkmcnt(0)
	s_barrier
	ds_read2st64_b32 v[2:3], v25 offset1:1
	s_add_i32 s60, s60, 8
	s_waitcnt lgkmcnt(0)
	s_barrier
	s_cbranch_execz .LBB9_414
.LBB9_402:                              ; =>This Inner Loop Header: Depth=1
	v_mov_b32_e32 v29, v0
	v_cmp_ne_u32_e32 vcc, s40, v29
	v_cndmask_b32_e32 v0, v19, v29, vcc
	v_mov_b32_e32 v27, v2
	v_bfe_u32 v2, v0, s60, 8
	v_mov_b32_e32 v28, v1
	v_lshrrev_b32_e32 v1, s60, v0
	v_lshl_add_u32 v2, v2, 4, v16
	v_bfe_u32 v0, v0, s60, 1
	v_lshl_add_u32 v30, v2, 2, 64
	v_add_co_u32_e32 v2, vcc, -1, v0
	v_mov_b32_e32 v26, v3
	v_addc_co_u32_e64 v3, s[36:37], 0, -1, vcc
	v_cmp_ne_u32_e32 vcc, 0, v0
	v_lshlrev_b32_e32 v11, 30, v1
	v_xor_b32_e32 v0, vcc_hi, v3
	v_not_b32_e32 v3, v11
	v_xor_b32_e32 v2, vcc_lo, v2
	v_cmp_gt_i64_e32 vcc, 0, v[10:11]
	v_ashrrev_i32_e32 v3, 31, v3
	v_and_b32_e32 v0, exec_hi, v0
	v_xor_b32_e32 v11, vcc_hi, v3
	v_and_b32_e32 v2, exec_lo, v2
	v_xor_b32_e32 v3, vcc_lo, v3
	v_and_b32_e32 v0, v0, v11
	v_lshlrev_b32_e32 v11, 29, v1
	v_and_b32_e32 v2, v2, v3
	v_not_b32_e32 v3, v11
	v_cmp_gt_i64_e32 vcc, 0, v[10:11]
	v_ashrrev_i32_e32 v3, 31, v3
	v_xor_b32_e32 v11, vcc_hi, v3
	v_xor_b32_e32 v3, vcc_lo, v3
	v_and_b32_e32 v0, v0, v11
	v_lshlrev_b32_e32 v11, 28, v1
	v_and_b32_e32 v2, v2, v3
	v_not_b32_e32 v3, v11
	v_cmp_gt_i64_e32 vcc, 0, v[10:11]
	v_ashrrev_i32_e32 v3, 31, v3
	v_xor_b32_e32 v11, vcc_hi, v3
	;; [unrolled: 8-line block ×5, first 2 shown]
	v_and_b32_e32 v0, v0, v11
	v_lshlrev_b32_e32 v11, 24, v1
	v_not_b32_e32 v1, v11
	v_xor_b32_e32 v3, vcc_lo, v3
	v_cmp_gt_i64_e32 vcc, 0, v[10:11]
	v_ashrrev_i32_e32 v1, 31, v1
	v_and_b32_e32 v2, v2, v3
	v_xor_b32_e32 v3, vcc_hi, v1
	v_xor_b32_e32 v11, vcc_lo, v1
	v_and_b32_e32 v1, v0, v3
	v_and_b32_e32 v0, v2, v11
	v_mbcnt_lo_u32_b32 v2, v0, 0
	v_mbcnt_hi_u32_b32 v31, v1, v2
	v_cmp_eq_u32_e32 vcc, 0, v31
	v_cmp_ne_u64_e64 s[36:37], 0, v[0:1]
	s_and_b64 s[64:65], s[36:37], vcc
	ds_write2_b64 v5, v[6:7], v[8:9] offset0:8 offset1:9
	s_waitcnt lgkmcnt(0)
	s_barrier
	s_waitcnt lgkmcnt(0)
	; wave barrier
	s_and_saveexec_b64 s[36:37], s[64:65]
	s_cbranch_execz .LBB9_404
; %bb.403:                              ;   in Loop: Header=BB9_402 Depth=1
	v_bcnt_u32_b32 v0, v0, 0
	v_bcnt_u32_b32 v0, v1, v0
	ds_write_b32 v30, v0
.LBB9_404:                              ;   in Loop: Header=BB9_402 Depth=1
	s_or_b64 exec, exec, s[36:37]
	v_cmp_ne_u32_e32 vcc, s40, v28
	v_cndmask_b32_e32 v0, v19, v28, vcc
	v_bfe_u32 v2, v0, s60, 8
	v_lshlrev_b32_e32 v2, 4, v2
	v_lshrrev_b32_e32 v1, s60, v0
	v_add_lshl_u32 v2, v2, v16, 2
	v_bfe_u32 v0, v0, s60, 1
	; wave barrier
	v_add_u32_e32 v33, 64, v2
	ds_read_b32 v32, v2 offset:64
	v_add_co_u32_e32 v2, vcc, -1, v0
	v_addc_co_u32_e64 v3, s[36:37], 0, -1, vcc
	v_cmp_ne_u32_e32 vcc, 0, v0
	v_lshlrev_b32_e32 v11, 30, v1
	v_xor_b32_e32 v0, vcc_hi, v3
	v_not_b32_e32 v3, v11
	v_xor_b32_e32 v2, vcc_lo, v2
	v_cmp_gt_i64_e32 vcc, 0, v[10:11]
	v_ashrrev_i32_e32 v3, 31, v3
	v_and_b32_e32 v0, exec_hi, v0
	v_xor_b32_e32 v11, vcc_hi, v3
	v_and_b32_e32 v2, exec_lo, v2
	v_xor_b32_e32 v3, vcc_lo, v3
	v_and_b32_e32 v0, v0, v11
	v_lshlrev_b32_e32 v11, 29, v1
	v_and_b32_e32 v2, v2, v3
	v_not_b32_e32 v3, v11
	v_cmp_gt_i64_e32 vcc, 0, v[10:11]
	v_ashrrev_i32_e32 v3, 31, v3
	v_xor_b32_e32 v11, vcc_hi, v3
	v_xor_b32_e32 v3, vcc_lo, v3
	v_and_b32_e32 v0, v0, v11
	v_lshlrev_b32_e32 v11, 28, v1
	v_and_b32_e32 v2, v2, v3
	v_not_b32_e32 v3, v11
	v_cmp_gt_i64_e32 vcc, 0, v[10:11]
	v_ashrrev_i32_e32 v3, 31, v3
	v_xor_b32_e32 v11, vcc_hi, v3
	;; [unrolled: 8-line block ×5, first 2 shown]
	v_and_b32_e32 v0, v0, v11
	v_lshlrev_b32_e32 v11, 24, v1
	v_not_b32_e32 v1, v11
	v_xor_b32_e32 v3, vcc_lo, v3
	v_cmp_gt_i64_e32 vcc, 0, v[10:11]
	v_ashrrev_i32_e32 v1, 31, v1
	v_and_b32_e32 v2, v2, v3
	v_xor_b32_e32 v3, vcc_hi, v1
	v_xor_b32_e32 v11, vcc_lo, v1
	v_and_b32_e32 v1, v0, v3
	v_and_b32_e32 v0, v2, v11
	v_mbcnt_lo_u32_b32 v2, v0, 0
	v_mbcnt_hi_u32_b32 v11, v1, v2
	v_cmp_eq_u32_e32 vcc, 0, v11
	v_cmp_ne_u64_e64 s[36:37], 0, v[0:1]
	s_and_b64 s[64:65], s[36:37], vcc
	; wave barrier
	s_and_saveexec_b64 s[36:37], s[64:65]
	s_cbranch_execz .LBB9_406
; %bb.405:                              ;   in Loop: Header=BB9_402 Depth=1
	v_bcnt_u32_b32 v0, v0, 0
	v_bcnt_u32_b32 v0, v1, v0
	s_waitcnt lgkmcnt(0)
	v_add_u32_e32 v0, v32, v0
	ds_write_b32 v33, v0
.LBB9_406:                              ;   in Loop: Header=BB9_402 Depth=1
	s_or_b64 exec, exec, s[36:37]
	; wave barrier
	s_waitcnt lgkmcnt(0)
	s_barrier
	ds_read2_b64 v[0:3], v5 offset0:8 offset1:9
	s_waitcnt lgkmcnt(0)
	v_add_u32_e32 v34, v1, v0
	v_add3_u32 v3, v34, v2, v3
	s_nop 1
	v_mov_b32_dpp v34, v3 row_shr:1 row_mask:0xf bank_mask:0xf
	v_cndmask_b32_e64 v34, v34, 0, s[4:5]
	v_add_u32_e32 v3, v34, v3
	s_nop 1
	v_mov_b32_dpp v34, v3 row_shr:2 row_mask:0xf bank_mask:0xf
	v_cndmask_b32_e64 v34, 0, v34, s[16:17]
	v_add_u32_e32 v3, v3, v34
	;; [unrolled: 4-line block ×4, first 2 shown]
	s_nop 1
	v_mov_b32_dpp v34, v3 row_bcast:15 row_mask:0xf bank_mask:0xf
	v_cndmask_b32_e64 v34, v34, 0, s[22:23]
	v_add_u32_e32 v3, v3, v34
	s_nop 1
	v_mov_b32_dpp v34, v3 row_bcast:31 row_mask:0xf bank_mask:0xf
	v_cndmask_b32_e64 v34, 0, v34, s[24:25]
	v_add_u32_e32 v3, v3, v34
	s_and_saveexec_b64 s[36:37], s[26:27]
	s_cbranch_execz .LBB9_408
; %bb.407:                              ;   in Loop: Header=BB9_402 Depth=1
	ds_write_b32 v23, v3
.LBB9_408:                              ;   in Loop: Header=BB9_402 Depth=1
	s_or_b64 exec, exec, s[36:37]
	s_waitcnt lgkmcnt(0)
	s_barrier
	s_and_saveexec_b64 s[36:37], s[28:29]
	s_cbranch_execz .LBB9_410
; %bb.409:                              ;   in Loop: Header=BB9_402 Depth=1
	v_add_u32_e32 v34, v5, v21
	ds_read_b32 v35, v34
	s_waitcnt lgkmcnt(0)
	s_nop 0
	v_mov_b32_dpp v36, v35 row_shr:1 row_mask:0xf bank_mask:0xf
	v_cndmask_b32_e64 v36, v36, 0, s[4:5]
	v_add_u32_e32 v35, v36, v35
	s_nop 1
	v_mov_b32_dpp v36, v35 row_shr:2 row_mask:0xf bank_mask:0xf
	v_cndmask_b32_e64 v36, 0, v36, s[16:17]
	v_add_u32_e32 v35, v35, v36
	;; [unrolled: 4-line block ×4, first 2 shown]
	ds_write_b32 v34, v35
.LBB9_410:                              ;   in Loop: Header=BB9_402 Depth=1
	s_or_b64 exec, exec, s[36:37]
	v_mov_b32_e32 v34, 0
	s_waitcnt lgkmcnt(0)
	s_barrier
	s_and_saveexec_b64 s[36:37], s[12:13]
	s_cbranch_execz .LBB9_412
; %bb.411:                              ;   in Loop: Header=BB9_402 Depth=1
	ds_read_b32 v34, v24
.LBB9_412:                              ;   in Loop: Header=BB9_402 Depth=1
	s_or_b64 exec, exec, s[36:37]
	s_waitcnt lgkmcnt(0)
	v_add_u32_e32 v3, v34, v3
	ds_bpermute_b32 v3, v22, v3
	s_cmp_gt_u32 s60, 23
	s_waitcnt lgkmcnt(0)
	v_cndmask_b32_e64 v3, v3, v34, s[30:31]
	v_cndmask_b32_e64 v34, v3, 0, s[2:3]
	v_add_u32_e32 v35, v34, v0
	v_add_u32_e32 v0, v35, v1
	;; [unrolled: 1-line block ×3, first 2 shown]
	ds_write2_b64 v5, v[34:35], v[0:1] offset0:8 offset1:9
	s_waitcnt lgkmcnt(0)
	s_barrier
	ds_read_b32 v0, v30
	ds_read_b32 v1, v33
	s_waitcnt lgkmcnt(1)
	v_add_u32_e32 v30, v0, v31
	s_waitcnt lgkmcnt(0)
	v_add3_u32 v11, v11, v32, v1
	s_cbranch_scc0 .LBB9_401
; %bb.413:
                                        ; implicit-def: $vgpr1
                                        ; implicit-def: $vgpr3
                                        ; implicit-def: $sgpr60
.LBB9_414:
	v_lshlrev_b32_e32 v0, 2, v30
	v_lshlrev_b32_e32 v1, 2, v11
	s_barrier
	ds_write_b32 v0, v29
	ds_write_b32 v1, v28
	s_waitcnt lgkmcnt(0)
	s_barrier
	s_barrier
	ds_write_b32 v0, v27
	ds_write_b32 v1, v26
	v_mov_b32_e32 v0, 0
	s_waitcnt lgkmcnt(0)
	s_barrier
	ds_read_b32 v1, v0 offset:16712
	ds_read_b32 v0, v20 offset:4096
	s_waitcnt lgkmcnt(1)
	v_add_u32_e32 v1, v1, v4
	v_cmp_gt_i32_e32 vcc, s42, v1
	s_and_saveexec_b64 s[4:5], vcc
	s_cbranch_execz .LBB9_416
; %bb.415:
	v_add_u32_e32 v2, v5, v21
	ds_read_b32 v2, v2
	v_mov_b32_e32 v3, 0x4150
	v_lshl_add_u32 v3, v1, 2, v3
	s_waitcnt lgkmcnt(0)
	ds_write_b32 v3, v2
.LBB9_416:
	s_or_b64 exec, exec, s[4:5]
	v_add_u32_e32 v2, 0x400, v1
	v_cmp_gt_i32_e32 vcc, s42, v2
	s_and_saveexec_b64 s[4:5], vcc
	s_cbranch_execz .LBB9_418
; %bb.417:
	v_mov_b32_e32 v2, 0x4150
	v_lshl_add_u32 v1, v1, 2, v2
	s_waitcnt lgkmcnt(0)
	ds_write_b32 v1, v0 offset:4096
.LBB9_418:
	s_or_b64 exec, exec, s[4:5]
	s_mov_b64 s[4:5], 0
	s_waitcnt lgkmcnt(0)
	s_barrier
.LBB9_419:
	s_and_b64 vcc, exec, s[4:5]
	s_cbranch_vccnz .LBB9_421
; %bb.420:
	v_cmp_gt_i32_e32 vcc, s42, v4
	s_and_saveexec_b64 s[0:1], vcc
	s_cbranch_execnz .LBB9_565
	s_branch .LBB9_577
.LBB9_421:
	v_mov_b32_e32 v0, 0
	ds_write_b32 v20, v0 offset:4224
	ds_write_b32 v14, v0 offset:4096
	v_lshlrev_b32_e32 v0, 10, v17
	v_and_b32_e32 v0, 0x1ffc00, v0
	v_or_b32_e32 v10, v0, v18
	s_mov_b64 s[4:5], -1
	s_and_b64 vcc, exec, s[58:59]
	s_waitcnt lgkmcnt(0)
	s_barrier
	s_cbranch_vccz .LBB9_428
; %bb.422:
	v_cmp_gt_i32_e32 vcc, s62, v4
	s_and_saveexec_b64 s[4:5], vcc
	s_cbranch_execz .LBB9_427
; %bb.423:
	v_mul_lo_u32 v0, v4, s41
	s_lshl_b32 s18, s41, 10
	s_mov_b64 s[12:13], 0
	v_mov_b32_e32 v2, s47
	s_movk_i32 s19, 0x400
	v_mov_b32_e32 v3, 1
	v_mov_b32_e32 v6, v4
	s_branch .LBB9_425
.LBB9_424:                              ;   in Loop: Header=BB9_425 Depth=1
	s_or_b64 exec, exec, s[16:17]
	v_add_u32_e32 v6, 0x400, v6
	v_cmp_le_i32_e32 vcc, s62, v6
	s_or_b64 s[12:13], vcc, s[12:13]
	v_add_u32_e32 v0, s18, v0
	s_andn2_b64 exec, exec, s[12:13]
	s_cbranch_execz .LBB9_427
.LBB9_425:                              ; =>This Inner Loop Header: Depth=1
	v_ashrrev_i32_e32 v1, 31, v0
	v_lshlrev_b64 v[8:9], 2, v[0:1]
	v_add_co_u32_e32 v8, vcc, s46, v8
	v_addc_co_u32_e32 v9, vcc, v2, v9, vcc
	global_load_dword v1, v[8:9], off
	s_waitcnt vmcnt(0)
	v_not_b32_e32 v7, v1
	v_and_b32_e32 v8, 0x7ffffc00, v7
	v_cmp_gt_i32_e32 vcc, 0, v1
	v_cndmask_b32_e32 v8, v8, v1, vcc
	v_xor_b32_e32 v8, v8, v10
	v_cmp_gt_u32_e32 vcc, s19, v8
	s_and_saveexec_b64 s[16:17], vcc
	s_cbranch_execz .LBB9_424
; %bb.426:                              ;   in Loop: Header=BB9_425 Depth=1
	v_ashrrev_i32_e32 v7, 31, v7
	v_xor_b32_e32 v1, v1, v7
	v_and_b32_e32 v1, 0x3ff, v1
	v_lshlrev_b32_e32 v1, 2, v1
	ds_add_u32 v1, v3 offset:4224
	s_branch .LBB9_424
.LBB9_427:
	s_or_b64 exec, exec, s[4:5]
	s_mov_b64 s[4:5], 0
.LBB9_428:
	s_andn2_b64 vcc, exec, s[4:5]
	s_cbranch_vccnz .LBB9_447
; %bb.429:
	s_and_b32 s4, s46, 15
	s_sub_i32 s12, 16, s4
	s_mov_b32 s5, 0
	s_lshr_b32 s12, s12, 2
	s_cmp_lg_u64 s[4:5], 0
	s_cselect_b32 s4, s12, 0
	s_min_i32 s12, s4, s62
	s_sub_i32 s4, s62, s12
	s_ashr_i32 s5, s4, 31
	s_lshr_b32 s5, s5, 30
	s_add_i32 s4, s4, s5
	s_ashr_i32 s20, s4, 2
	s_mov_b64 s[16:17], 0
	s_ashr_i32 s13, s12, 31
	v_cmp_gt_i32_e32 vcc, s20, v4
	s_and_saveexec_b64 s[18:19], vcc
	s_cbranch_execz .LBB9_440
; %bb.430:
	s_lshl_b64 s[4:5], s[12:13], 2
	s_add_u32 s4, s48, s4
	s_addc_u32 s5, s49, s5
	s_add_u32 s4, s4, s50
	s_addc_u32 s5, s5, s51
	v_mov_b32_e32 v0, s5
	v_add_co_u32_e32 v1, vcc, s4, v5
	v_addc_co_u32_e32 v0, vcc, 0, v0, vcc
	v_add_co_u32_e32 v6, vcc, 8, v1
	v_addc_co_u32_e32 v7, vcc, 0, v0, vcc
	s_movk_i32 s13, 0x400
	v_mov_b32_e32 v8, 1
	v_mov_b32_e32 v9, v4
	s_branch .LBB9_432
.LBB9_431:                              ;   in Loop: Header=BB9_432 Depth=1
	s_or_b64 exec, exec, s[4:5]
	v_add_u32_e32 v9, 0x400, v9
	v_add_co_u32_e32 v6, vcc, 0x4000, v6
	v_cmp_le_i32_e64 s[4:5], s20, v9
	s_or_b64 s[16:17], s[4:5], s[16:17]
	v_addc_co_u32_e32 v7, vcc, 0, v7, vcc
	s_andn2_b64 exec, exec, s[16:17]
	s_cbranch_execz .LBB9_440
.LBB9_432:                              ; =>This Inner Loop Header: Depth=1
	global_load_dwordx4 v[0:3], v[6:7], off offset:-8
	s_waitcnt vmcnt(0)
	v_not_b32_e32 v11, v0
	v_and_b32_e32 v17, 0x7ffffc00, v11
	v_cmp_gt_i32_e32 vcc, 0, v0
	v_cndmask_b32_e32 v17, v17, v0, vcc
	v_xor_b32_e32 v17, v17, v10
	v_cmp_gt_u32_e32 vcc, s13, v17
	s_and_saveexec_b64 s[4:5], vcc
	s_cbranch_execz .LBB9_434
; %bb.433:                              ;   in Loop: Header=BB9_432 Depth=1
	v_ashrrev_i32_e32 v11, 31, v11
	v_xor_b32_e32 v0, v0, v11
	v_and_b32_e32 v0, 0x3ff, v0
	v_lshlrev_b32_e32 v0, 2, v0
	ds_add_u32 v0, v8 offset:4224
.LBB9_434:                              ;   in Loop: Header=BB9_432 Depth=1
	s_or_b64 exec, exec, s[4:5]
	v_not_b32_e32 v0, v1
	v_and_b32_e32 v11, 0x7ffffc00, v0
	v_cmp_gt_i32_e32 vcc, 0, v1
	v_cndmask_b32_e32 v11, v11, v1, vcc
	v_xor_b32_e32 v11, v11, v10
	v_cmp_gt_u32_e32 vcc, s13, v11
	s_and_saveexec_b64 s[4:5], vcc
	s_cbranch_execz .LBB9_436
; %bb.435:                              ;   in Loop: Header=BB9_432 Depth=1
	v_ashrrev_i32_e32 v0, 31, v0
	v_xor_b32_e32 v0, v1, v0
	v_and_b32_e32 v0, 0x3ff, v0
	v_lshlrev_b32_e32 v0, 2, v0
	ds_add_u32 v0, v8 offset:4224
.LBB9_436:                              ;   in Loop: Header=BB9_432 Depth=1
	s_or_b64 exec, exec, s[4:5]
	;; [unrolled: 16-line block ×3, first 2 shown]
	v_not_b32_e32 v0, v3
	v_and_b32_e32 v1, 0x7ffffc00, v0
	v_cmp_gt_i32_e32 vcc, 0, v3
	v_cndmask_b32_e32 v1, v1, v3, vcc
	v_xor_b32_e32 v1, v1, v10
	v_cmp_gt_u32_e32 vcc, s13, v1
	s_and_saveexec_b64 s[4:5], vcc
	s_cbranch_execz .LBB9_431
; %bb.439:                              ;   in Loop: Header=BB9_432 Depth=1
	v_ashrrev_i32_e32 v0, 31, v0
	v_xor_b32_e32 v0, v3, v0
	v_and_b32_e32 v0, 0x3ff, v0
	v_lshlrev_b32_e32 v0, 2, v0
	ds_add_u32 v0, v8 offset:4224
	s_branch .LBB9_431
.LBB9_440:
	s_or_b64 exec, exec, s[18:19]
	v_cmp_gt_u32_e32 vcc, s12, v4
	s_and_saveexec_b64 s[4:5], vcc
	s_cbranch_execz .LBB9_443
; %bb.441:
	global_load_dword v0, v20, s[46:47]
	s_movk_i32 s13, 0x400
	s_waitcnt vmcnt(0)
	v_not_b32_e32 v1, v0
	v_and_b32_e32 v2, 0x7ffffc00, v1
	v_cmp_gt_i32_e32 vcc, 0, v0
	v_cndmask_b32_e32 v2, v2, v0, vcc
	v_xor_b32_e32 v2, v2, v10
	v_cmp_gt_u32_e32 vcc, s13, v2
	s_and_b64 exec, exec, vcc
	s_cbranch_execz .LBB9_443
; %bb.442:
	v_ashrrev_i32_e32 v1, 31, v1
	v_xor_b32_e32 v0, v0, v1
	v_and_b32_e32 v0, 0x3ff, v0
	v_lshlrev_b32_e32 v0, 2, v0
	v_mov_b32_e32 v1, 1
	ds_add_u32 v0, v1 offset:4224
.LBB9_443:
	s_or_b64 exec, exec, s[4:5]
	s_lshl_b32 s4, s20, 2
	s_add_i32 s4, s4, s12
	v_add_u32_e32 v0, s4, v4
	v_cmp_gt_i32_e32 vcc, s62, v0
	s_and_saveexec_b64 s[4:5], vcc
	s_cbranch_execz .LBB9_446
; %bb.444:
	v_ashrrev_i32_e32 v1, 31, v0
	v_lshlrev_b64 v[0:1], 2, v[0:1]
	v_mov_b32_e32 v2, s47
	v_add_co_u32_e32 v0, vcc, s46, v0
	v_addc_co_u32_e32 v1, vcc, v2, v1, vcc
	global_load_dword v0, v[0:1], off
	s_movk_i32 s12, 0x400
	s_waitcnt vmcnt(0)
	v_not_b32_e32 v1, v0
	v_and_b32_e32 v2, 0x7ffffc00, v1
	v_cmp_gt_i32_e32 vcc, 0, v0
	v_cndmask_b32_e32 v2, v2, v0, vcc
	v_xor_b32_e32 v2, v2, v10
	v_cmp_gt_u32_e32 vcc, s12, v2
	s_and_b64 exec, exec, vcc
	s_cbranch_execz .LBB9_446
; %bb.445:
	v_ashrrev_i32_e32 v1, 31, v1
	v_xor_b32_e32 v0, v0, v1
	v_and_b32_e32 v0, 0x3ff, v0
	v_lshlrev_b32_e32 v0, 2, v0
	v_mov_b32_e32 v1, 1
	ds_add_u32 v0, v1 offset:4224
.LBB9_446:
	s_or_b64 exec, exec, s[4:5]
.LBB9_447:
	s_waitcnt lgkmcnt(0)
	s_barrier
	v_mov_b32_e32 v1, 0
	ds_read_b32 v2, v20 offset:4224
	ds_read_b32 v0, v1 offset:16712
	s_waitcnt lgkmcnt(0)
	s_barrier
	ds_write_b32 v13, v2
	s_waitcnt lgkmcnt(0)
	s_barrier
	s_and_saveexec_b64 s[4:5], s[14:15]
	s_cbranch_execz .LBB9_449
; %bb.448:
	ds_read2_b32 v[6:7], v12 offset1:1
	ds_read2_b32 v[8:9], v12 offset0:2 offset1:3
	ds_read2_b32 v[18:19], v12 offset0:4 offset1:5
	;; [unrolled: 1-line block ×7, first 2 shown]
	s_waitcnt lgkmcnt(7)
	v_add_u32_e32 v3, v7, v6
	s_waitcnt lgkmcnt(6)
	v_add3_u32 v3, v3, v8, v9
	s_waitcnt lgkmcnt(5)
	v_add3_u32 v3, v3, v18, v19
	s_waitcnt lgkmcnt(4)
	v_add3_u32 v3, v3, v22, v23
	s_waitcnt lgkmcnt(3)
	v_add3_u32 v3, v3, v24, v25
	s_waitcnt lgkmcnt(2)
	v_add3_u32 v3, v3, v26, v27
	v_mbcnt_lo_u32_b32 v11, -1, 0
	s_waitcnt lgkmcnt(1)
	v_add3_u32 v3, v3, v28, v29
	v_mbcnt_hi_u32_b32 v11, -1, v11
	s_waitcnt lgkmcnt(0)
	v_add3_u32 v3, v3, v30, v31
	v_and_b32_e32 v17, 15, v11
	v_cmp_ne_u32_e32 vcc, 0, v17
	v_mov_b32_dpp v21, v3 row_shr:1 row_mask:0xf bank_mask:0xf
	v_cndmask_b32_e32 v21, 0, v21, vcc
	v_add_u32_e32 v3, v21, v3
	v_cmp_lt_u32_e32 vcc, 1, v17
	s_nop 0
	v_mov_b32_dpp v21, v3 row_shr:2 row_mask:0xf bank_mask:0xf
	v_cndmask_b32_e32 v21, 0, v21, vcc
	v_add_u32_e32 v3, v3, v21
	v_cmp_lt_u32_e32 vcc, 3, v17
	s_nop 0
	v_mov_b32_dpp v21, v3 row_shr:4 row_mask:0xf bank_mask:0xf
	v_cndmask_b32_e32 v21, 0, v21, vcc
	v_add_u32_e32 v3, v3, v21
	v_cmp_lt_u32_e32 vcc, 7, v17
	s_nop 0
	v_mov_b32_dpp v21, v3 row_shr:8 row_mask:0xf bank_mask:0xf
	v_cndmask_b32_e32 v17, 0, v21, vcc
	v_add_u32_e32 v3, v3, v17
	v_bfe_i32 v21, v11, 4, 1
	v_cmp_lt_u32_e32 vcc, 31, v11
	v_mov_b32_dpp v17, v3 row_bcast:15 row_mask:0xf bank_mask:0xf
	v_and_b32_e32 v17, v21, v17
	v_add_u32_e32 v3, v3, v17
	v_and_b32_e32 v21, 64, v11
	s_nop 0
	v_mov_b32_dpp v17, v3 row_bcast:31 row_mask:0xf bank_mask:0xf
	v_cndmask_b32_e32 v17, 0, v17, vcc
	v_add_u32_e32 v3, v3, v17
	v_add_u32_e32 v17, -1, v11
	v_cmp_lt_i32_e32 vcc, v17, v21
	v_cndmask_b32_e32 v11, v17, v11, vcc
	v_lshlrev_b32_e32 v11, 2, v11
	ds_bpermute_b32 v3, v11, v3
	s_waitcnt lgkmcnt(0)
	v_add_u32_e32 v3, v3, v6
	v_cndmask_b32_e64 v2, v3, v2, s[2:3]
	v_add_u32_e32 v3, v2, v7
	ds_write2_b32 v12, v2, v3 offset1:1
	v_add_u32_e32 v2, v3, v8
	v_add_u32_e32 v3, v2, v9
	ds_write2_b32 v12, v2, v3 offset0:2 offset1:3
	v_add_u32_e32 v2, v3, v18
	v_add_u32_e32 v3, v2, v19
	ds_write2_b32 v12, v2, v3 offset0:4 offset1:5
	;; [unrolled: 3-line block ×7, first 2 shown]
.LBB9_449:
	s_or_b64 exec, exec, s[4:5]
	s_waitcnt lgkmcnt(0)
	s_barrier
	s_and_saveexec_b64 s[4:5], s[0:1]
	s_cbranch_execz .LBB9_451
; %bb.450:
	ds_read_b32 v1, v15
.LBB9_451:
	s_or_b64 exec, exec, s[4:5]
	v_mov_b32_e32 v2, 0
	ds_read_b32 v3, v2 offset:4216
	s_waitcnt lgkmcnt(1)
	v_add_u32_e32 v1, v1, v0
	v_cmp_gt_i32_e32 vcc, s42, v1
	ds_write_b32 v20, v1 offset:4224
	s_waitcnt lgkmcnt(0)
	v_add_u32_e32 v0, v3, v0
	s_barrier
	s_and_saveexec_b64 s[4:5], vcc
	s_cbranch_execz .LBB9_457
; %bb.452:
	v_mov_b32_e32 v3, v0
	s_and_saveexec_b64 s[12:13], s[34:35]
	s_cbranch_execz .LBB9_454
; %bb.453:
	ds_read_b32 v3, v14 offset:4
.LBB9_454:
	s_or_b64 exec, exec, s[12:13]
	s_waitcnt lgkmcnt(0)
	v_cmp_le_i32_e32 vcc, s42, v3
	v_mov_b32_e32 v2, 0
	s_and_saveexec_b64 s[12:13], vcc
	s_cbranch_execz .LBB9_456
; %bb.455:
	s_movk_i32 s16, 0x4000
	v_sub_u32_e32 v1, v3, v1
	v_add_u32_e64 v2, s16, 0
	ds_write2_b32 v2, v1, v4 offset0:81 offset1:83
	v_mov_b32_e32 v2, 1
.LBB9_456:
	s_or_b64 exec, exec, s[12:13]
.LBB9_457:
	s_or_b64 exec, exec, s[4:5]
	v_or_b32_dpp v1, v2, v2 row_shl:1 row_mask:0xf bank_mask:0xf bound_ctrl:1
	s_bitcmp1_b32 exec_hi, 0
	s_nop 0
	v_or_b32_dpp v1, v1, v1 row_shl:2 row_mask:0xf bank_mask:0xf bound_ctrl:1
	s_nop 1
	v_or_b32_dpp v1, v1, v1 row_shl:4 row_mask:0xf bank_mask:0xf bound_ctrl:1
	;; [unrolled: 2-line block ×3, first 2 shown]
	s_nop 1
	v_mov_b32_dpp v2, v1 wave_shl:1 row_mask:0xf bank_mask:0xf bound_ctrl:1
	s_nop 1
	v_or_b32_dpp v1, v2, v1 row_mirror row_mask:0xf bank_mask:0xf bound_ctrl:1
	v_readlane_b32 s4, v1, 32
	s_cselect_b32 s4, s4, 0
	v_readlane_b32 s5, v1, 0
	s_or_b32 s16, s4, s5
	v_cndmask_b32_e64 v1, 0, 1, s[56:57]
	v_cmp_ne_u32_e64 s[4:5], 1, v1
	s_andn2_b64 vcc, exec, s[56:57]
	v_mov_b32_e32 v1, s16
	s_cbranch_vccnz .LBB9_464
; %bb.458:
	v_mbcnt_lo_u32_b32 v1, -1, 0
	v_mbcnt_hi_u32_b32 v1, -1, v1
	v_or_b32_e32 v2, v1, v16
	v_cmp_eq_u32_e32 vcc, 0, v2
	s_and_saveexec_b64 s[12:13], vcc
	s_cbranch_execz .LBB9_460
; %bb.459:
	v_mov_b32_e32 v2, 0
	v_mov_b32_e32 v3, s16
	ds_write_b32 v2, v3 offset:16448
.LBB9_460:
	s_or_b64 exec, exec, s[12:13]
	v_cmp_eq_u32_e32 vcc, 0, v1
	s_and_b64 s[18:19], s[8:9], vcc
	s_waitcnt lgkmcnt(0)
	s_barrier
	s_and_saveexec_b64 s[12:13], s[18:19]
	s_cbranch_execz .LBB9_463
; %bb.461:
	v_mbcnt_lo_u32_b32 v1, exec_lo, 0
	v_mbcnt_hi_u32_b32 v1, exec_hi, v1
	v_cmp_eq_u32_e32 vcc, 0, v1
	s_and_b64 exec, exec, vcc
	s_cbranch_execz .LBB9_463
; %bb.462:
	v_mov_b32_e32 v1, 0
	v_mov_b32_e32 v2, s16
	ds_or_b32 v1, v2 offset:16448
.LBB9_463:
	s_or_b64 exec, exec, s[12:13]
	v_mov_b32_e32 v1, 0
	s_waitcnt lgkmcnt(0)
	s_barrier
	ds_read_b32 v1, v1 offset:16448
	s_waitcnt lgkmcnt(0)
	s_barrier
.LBB9_464:
	v_cmp_eq_u32_e32 vcc, 0, v1
	s_cbranch_vccz .LBB9_482
; %bb.465:
	ds_read_b32 v2, v14 offset:4096
	v_mbcnt_lo_u32_b32 v1, -1, 0
	s_waitcnt lgkmcnt(0)
	s_barrier
	ds_write_b32 v13, v2
	s_waitcnt lgkmcnt(0)
	s_barrier
	s_and_saveexec_b64 s[12:13], s[14:15]
	s_cbranch_execz .LBB9_467
; %bb.466:
	ds_read2_b32 v[6:7], v12 offset1:1
	ds_read2_b32 v[8:9], v12 offset0:2 offset1:3
	ds_read2_b32 v[18:19], v12 offset0:4 offset1:5
	;; [unrolled: 1-line block ×7, first 2 shown]
	s_waitcnt lgkmcnt(7)
	v_add_u32_e32 v3, v7, v6
	s_waitcnt lgkmcnt(6)
	v_add3_u32 v3, v3, v8, v9
	s_waitcnt lgkmcnt(5)
	v_add3_u32 v3, v3, v18, v19
	;; [unrolled: 2-line block ×6, first 2 shown]
	v_mbcnt_hi_u32_b32 v11, -1, v1
	s_waitcnt lgkmcnt(0)
	v_add3_u32 v3, v3, v30, v31
	v_and_b32_e32 v13, 15, v11
	v_cmp_ne_u32_e32 vcc, 0, v13
	v_mov_b32_dpp v17, v3 row_shr:1 row_mask:0xf bank_mask:0xf
	v_cndmask_b32_e32 v17, 0, v17, vcc
	v_add_u32_e32 v3, v17, v3
	v_cmp_lt_u32_e32 vcc, 1, v13
	s_nop 0
	v_mov_b32_dpp v17, v3 row_shr:2 row_mask:0xf bank_mask:0xf
	v_cndmask_b32_e32 v17, 0, v17, vcc
	v_add_u32_e32 v3, v3, v17
	v_cmp_lt_u32_e32 vcc, 3, v13
	s_nop 0
	;; [unrolled: 5-line block ×3, first 2 shown]
	v_mov_b32_dpp v17, v3 row_shr:8 row_mask:0xf bank_mask:0xf
	v_cndmask_b32_e32 v13, 0, v17, vcc
	v_add_u32_e32 v3, v3, v13
	v_bfe_i32 v17, v11, 4, 1
	v_cmp_lt_u32_e32 vcc, 31, v11
	v_mov_b32_dpp v13, v3 row_bcast:15 row_mask:0xf bank_mask:0xf
	v_and_b32_e32 v13, v17, v13
	v_add_u32_e32 v3, v3, v13
	v_and_b32_e32 v17, 64, v11
	s_nop 0
	v_mov_b32_dpp v13, v3 row_bcast:31 row_mask:0xf bank_mask:0xf
	v_cndmask_b32_e32 v13, 0, v13, vcc
	v_add_u32_e32 v3, v3, v13
	v_add_u32_e32 v13, -1, v11
	v_cmp_lt_i32_e32 vcc, v13, v17
	v_cndmask_b32_e32 v11, v13, v11, vcc
	v_lshlrev_b32_e32 v11, 2, v11
	ds_bpermute_b32 v3, v11, v3
	s_waitcnt lgkmcnt(0)
	v_add_u32_e32 v3, v3, v6
	v_cndmask_b32_e64 v2, v3, v2, s[2:3]
	v_add_u32_e32 v3, v2, v7
	ds_write2_b32 v12, v2, v3 offset1:1
	v_add_u32_e32 v2, v3, v8
	v_add_u32_e32 v3, v2, v9
	ds_write2_b32 v12, v2, v3 offset0:2 offset1:3
	v_add_u32_e32 v2, v3, v18
	v_add_u32_e32 v3, v2, v19
	ds_write2_b32 v12, v2, v3 offset0:4 offset1:5
	v_add_u32_e32 v2, v3, v22
	v_add_u32_e32 v3, v2, v23
	ds_write2_b32 v12, v2, v3 offset0:6 offset1:7
	v_add_u32_e32 v2, v3, v24
	v_add_u32_e32 v3, v2, v25
	ds_write2_b32 v12, v2, v3 offset0:8 offset1:9
	v_add_u32_e32 v2, v3, v26
	v_add_u32_e32 v3, v2, v27
	ds_write2_b32 v12, v2, v3 offset0:10 offset1:11
	v_add_u32_e32 v2, v3, v28
	v_add_u32_e32 v3, v2, v29
	ds_write2_b32 v12, v2, v3 offset0:12 offset1:13
	v_add_u32_e32 v2, v3, v30
	v_add_u32_e32 v3, v2, v31
	ds_write2_b32 v12, v2, v3 offset0:14 offset1:15
.LBB9_467:
	s_or_b64 exec, exec, s[12:13]
	v_mov_b32_e32 v2, 0
	v_mov_b32_e32 v3, 0
	s_waitcnt lgkmcnt(0)
	s_barrier
	s_and_saveexec_b64 s[2:3], s[0:1]
	s_cbranch_execz .LBB9_469
; %bb.468:
	ds_read_b32 v3, v15
.LBB9_469:
	s_or_b64 exec, exec, s[2:3]
	ds_read_b32 v6, v2 offset:4216
	s_waitcnt lgkmcnt(1)
	v_add_u32_e32 v3, v3, v0
	v_cmp_gt_i32_e32 vcc, s42, v3
	ds_write_b32 v14, v3 offset:4096
	s_waitcnt lgkmcnt(0)
	s_barrier
	s_and_saveexec_b64 s[0:1], vcc
	s_cbranch_execz .LBB9_475
; %bb.470:
	v_add_u32_e32 v0, v6, v0
	s_and_saveexec_b64 s[2:3], s[34:35]
	s_cbranch_execz .LBB9_472
; %bb.471:
	ds_read_b32 v0, v14 offset:4100
.LBB9_472:
	s_or_b64 exec, exec, s[2:3]
	s_waitcnt lgkmcnt(0)
	v_cmp_le_i32_e32 vcc, s42, v0
	v_mov_b32_e32 v2, 0
	s_and_saveexec_b64 s[2:3], vcc
	s_cbranch_execz .LBB9_474
; %bb.473:
	s_movk_i32 s12, 0x4000
	v_or_b32_e32 v2, 0x400, v4
	v_sub_u32_e32 v0, v0, v3
	v_add_u32_e64 v3, s12, 0
	ds_write2_b32 v3, v0, v2 offset0:81 offset1:83
	v_mov_b32_e32 v2, 1
.LBB9_474:
	s_or_b64 exec, exec, s[2:3]
.LBB9_475:
	s_or_b64 exec, exec, s[0:1]
	v_or_b32_dpp v0, v2, v2 row_shl:1 row_mask:0xf bank_mask:0xf bound_ctrl:1
	s_and_b64 vcc, exec, s[4:5]
	s_nop 0
	v_or_b32_dpp v0, v0, v0 row_shl:2 row_mask:0xf bank_mask:0xf bound_ctrl:1
	s_nop 1
	v_or_b32_dpp v0, v0, v0 row_shl:4 row_mask:0xf bank_mask:0xf bound_ctrl:1
	;; [unrolled: 2-line block ×3, first 2 shown]
	s_nop 1
	v_mov_b32_dpp v2, v0 wave_shl:1 row_mask:0xf bank_mask:0xf bound_ctrl:1
	s_nop 1
	v_or_b32_dpp v0, v2, v0 row_mirror row_mask:0xf bank_mask:0xf bound_ctrl:1
	v_readlane_b32 s0, v0, 32
	v_readlane_b32 s1, v0, 0
	s_cbranch_vccnz .LBB9_482
; %bb.476:
	s_bitcmp1_b32 exec_hi, 0
	v_mbcnt_hi_u32_b32 v0, -1, v1
	s_cselect_b32 s0, s0, 0
	v_or_b32_e32 v1, v0, v16
	s_or_b32 s2, s0, s1
	v_cmp_eq_u32_e32 vcc, 0, v1
	s_and_saveexec_b64 s[0:1], vcc
	s_cbranch_execz .LBB9_478
; %bb.477:
	v_mov_b32_e32 v1, 0
	v_mov_b32_e32 v2, s2
	ds_write_b32 v1, v2 offset:16448
.LBB9_478:
	s_or_b64 exec, exec, s[0:1]
	v_cmp_eq_u32_e32 vcc, 0, v0
	s_and_b64 s[4:5], s[8:9], vcc
	s_waitcnt lgkmcnt(0)
	s_barrier
	s_and_saveexec_b64 s[0:1], s[4:5]
	s_cbranch_execz .LBB9_481
; %bb.479:
	v_mbcnt_lo_u32_b32 v0, exec_lo, 0
	v_mbcnt_hi_u32_b32 v0, exec_hi, v0
	v_cmp_eq_u32_e32 vcc, 0, v0
	s_and_b64 exec, exec, vcc
	s_cbranch_execz .LBB9_481
; %bb.480:
	v_mov_b32_e32 v0, 0
	v_mov_b32_e32 v1, s2
	ds_or_b32 v0, v1 offset:16448
.LBB9_481:
	s_or_b64 exec, exec, s[0:1]
	v_mov_b32_e32 v0, 0
	s_waitcnt lgkmcnt(0)
	s_barrier
	ds_read_b32 v0, v0 offset:16448
	s_waitcnt lgkmcnt(0)
	s_barrier
.LBB9_482:
	v_mov_b32_e32 v0, 0
	s_waitcnt lgkmcnt(0)
	s_barrier
	ds_read_b32 v11, v0 offset:16716
	s_and_b64 vcc, exec, s[10:11]
	s_mov_b64 s[0:1], -1
	s_cbranch_vccnz .LBB9_497
; %bb.483:
	v_cmp_gt_i32_e32 vcc, s62, v4
	s_and_saveexec_b64 s[0:1], vcc
	s_cbranch_execz .LBB9_496
; %bb.484:
	s_mul_i32 s4, s6, s7
	s_mul_hi_i32 s2, s6, s7
	s_mul_i32 s3, s4, s63
	s_mul_hi_u32 s5, s4, s42
	s_add_i32 s3, s5, s3
	s_mul_i32 s2, s2, s42
	s_add_i32 s3, s3, s2
	s_mul_i32 s2, s4, s42
	s_lshl_b64 s[2:3], s[2:3], 2
	s_add_u32 s2, s54, s2
	s_addc_u32 s3, s55, s3
	v_mov_b32_e32 v1, s3
	v_add_co_u32_e32 v0, vcc, s2, v20
	s_waitcnt lgkmcnt(0)
	v_lshlrev_b32_e32 v6, 2, v11
	v_mov_b32_e32 v7, 0
	v_addc_co_u32_e32 v1, vcc, 0, v1, vcc
	v_mul_lo_u32 v2, v4, s41
	s_lshl_b32 s12, s41, 10
	s_mov_b64 s[2:3], 0
	v_mov_b32_e32 v8, s47
	s_movk_i32 s13, 0x400
	v_mov_b32_e32 v9, 0x4150
	v_mov_b32_e32 v12, v4
	s_branch .LBB9_486
.LBB9_485:                              ;   in Loop: Header=BB9_486 Depth=1
	s_or_b64 exec, exec, s[4:5]
	v_add_co_u32_e32 v0, vcc, 0x1000, v0
	v_add_u32_e32 v12, 0x400, v12
	v_addc_co_u32_e32 v1, vcc, 0, v1, vcc
	v_cmp_le_i32_e32 vcc, s62, v12
	s_or_b64 s[2:3], vcc, s[2:3]
	v_add_u32_e32 v2, s12, v2
	s_andn2_b64 exec, exec, s[2:3]
	s_cbranch_execz .LBB9_496
.LBB9_486:                              ; =>This Inner Loop Header: Depth=1
	v_ashrrev_i32_e32 v3, 31, v2
	v_lshlrev_b64 v[14:15], 2, v[2:3]
	v_add_co_u32_e32 v14, vcc, s46, v14
	v_addc_co_u32_e32 v15, vcc, v8, v15, vcc
	global_load_dword v3, v[14:15], off
	s_waitcnt vmcnt(0)
	v_not_b32_e32 v13, v3
	v_and_b32_e32 v14, 0x7ffffc00, v13
	v_cmp_gt_i32_e32 vcc, 0, v3
	v_cndmask_b32_e32 v14, v14, v3, vcc
	v_xor_b32_e32 v14, v14, v10
	v_cmp_gt_u32_e32 vcc, s13, v14
	s_and_saveexec_b64 s[4:5], vcc
	s_cbranch_execz .LBB9_485
; %bb.487:                              ;   in Loop: Header=BB9_486 Depth=1
	v_ashrrev_i32_e32 v13, 31, v13
	v_xor_b32_e32 v3, v3, v13
	v_and_b32_e32 v3, 0x3ff, v3
	v_cmp_lt_u32_e32 vcc, v3, v11
	s_and_saveexec_b64 s[6:7], vcc
	s_cbranch_execz .LBB9_491
; %bb.488:                              ;   in Loop: Header=BB9_486 Depth=1
	s_mov_b64 s[10:11], exec
	v_mbcnt_lo_u32_b32 v13, s10, 0
	v_mbcnt_hi_u32_b32 v13, s11, v13
	v_cmp_eq_u32_e32 vcc, 0, v13
                                        ; implicit-def: $vgpr14
	s_and_saveexec_b64 s[8:9], vcc
	s_cbranch_execz .LBB9_490
; %bb.489:                              ;   in Loop: Header=BB9_486 Depth=1
	s_bcnt1_i32_b64 s10, s[10:11]
	v_mov_b32_e32 v14, s10
	ds_add_rtn_u32 v14, v7, v14 offset:16712
.LBB9_490:                              ;   in Loop: Header=BB9_486 Depth=1
	s_or_b64 exec, exec, s[8:9]
	global_load_dword v15, v[0:1], off
	s_waitcnt lgkmcnt(0)
	v_readfirstlane_b32 s8, v14
	v_add_u32_e32 v13, s8, v13
	v_lshl_add_u32 v13, v13, 2, v9
	s_waitcnt vmcnt(0)
	ds_write_b32 v13, v15
.LBB9_491:                              ;   in Loop: Header=BB9_486 Depth=1
	s_or_b64 exec, exec, s[6:7]
	v_cmp_eq_u32_e32 vcc, v3, v11
	s_and_b64 exec, exec, vcc
	s_cbranch_execz .LBB9_485
; %bb.492:                              ;   in Loop: Header=BB9_486 Depth=1
	s_mov_b64 s[8:9], exec
	v_mbcnt_lo_u32_b32 v3, s8, 0
	v_mbcnt_hi_u32_b32 v3, s9, v3
	v_cmp_eq_u32_e32 vcc, 0, v3
                                        ; implicit-def: $vgpr13
	s_and_saveexec_b64 s[6:7], vcc
	s_cbranch_execz .LBB9_494
; %bb.493:                              ;   in Loop: Header=BB9_486 Depth=1
	s_bcnt1_i32_b64 s8, s[8:9]
	v_mov_b32_e32 v13, s8
	ds_add_rtn_u32 v13, v6, v13 offset:4224
.LBB9_494:                              ;   in Loop: Header=BB9_486 Depth=1
	s_or_b64 exec, exec, s[6:7]
	s_waitcnt lgkmcnt(0)
	v_readfirstlane_b32 s6, v13
	v_add_u32_e32 v3, s6, v3
	v_cmp_gt_i32_e32 vcc, s42, v3
	s_and_b64 exec, exec, vcc
	s_cbranch_execz .LBB9_485
; %bb.495:                              ;   in Loop: Header=BB9_486 Depth=1
	global_load_dword v13, v[0:1], off
	v_lshl_add_u32 v3, v3, 2, v9
	s_waitcnt vmcnt(0)
	ds_write_b32 v3, v13
	s_branch .LBB9_485
.LBB9_496:
	s_or_b64 exec, exec, s[0:1]
	s_mov_b64 s[0:1], 0
.LBB9_497:
	s_andn2_b64 vcc, exec, s[0:1]
	s_cbranch_vccnz .LBB9_564
; %bb.498:
	s_and_b32 s0, s46, 15
	s_sub_i32 s2, 16, s0
	s_mov_b32 s1, 0
	s_lshr_b32 s2, s2, 2
	s_cmp_lg_u64 s[0:1], 0
	s_cselect_b32 s0, s2, 0
	s_min_i32 s2, s0, s62
	s_sub_i32 s0, s62, s2
	s_ashr_i32 s1, s0, 31
	s_lshr_b32 s1, s1, 30
	s_add_i32 s0, s0, s1
	s_ashr_i32 s14, s0, 2
	v_mov_b32_e32 v12, 0
	s_mov_b64 s[4:5], 0
	s_ashr_i32 s3, s2, 31
	v_cmp_gt_i32_e32 vcc, s14, v4
	s_and_saveexec_b64 s[6:7], vcc
	s_cbranch_execz .LBB9_541
; %bb.499:
	s_add_u32 s15, s52, 4
	s_addc_u32 s16, s53, 0
	s_add_u32 s17, s52, 8
	s_addc_u32 s18, s53, 0
	;; [unrolled: 2-line block ×3, first 2 shown]
	s_lshl_b64 s[0:1], s[2:3], 2
	s_add_u32 s0, s48, s0
	s_addc_u32 s1, s49, s1
	s_add_u32 s0, s0, s50
	s_addc_u32 s1, s1, s51
	v_mov_b32_e32 v0, s1
	v_add_co_u32_e32 v1, vcc, s0, v5
	v_addc_co_u32_e32 v0, vcc, 0, v0, vcc
	v_add_co_u32_e32 v8, vcc, 8, v1
	s_waitcnt lgkmcnt(0)
	v_lshlrev_b32_e32 v13, 2, v11
	v_lshl_add_u32 v6, v4, 2, s2
	v_addc_co_u32_e32 v9, vcc, 0, v0, vcc
	s_movk_i32 s3, 0x400
	v_mov_b32_e32 v5, 0x4150
	v_mov_b32_e32 v14, v4
	s_branch .LBB9_501
.LBB9_500:                              ;   in Loop: Header=BB9_501 Depth=1
	s_or_b64 exec, exec, s[0:1]
	v_add_u32_e32 v14, 0x400, v14
	v_add_co_u32_e32 v8, vcc, 0x4000, v8
	v_cmp_le_i32_e64 s[0:1], s14, v14
	v_add_u32_e32 v6, 0x1000, v6
	s_or_b64 s[4:5], s[0:1], s[4:5]
	v_addc_co_u32_e32 v9, vcc, 0, v9, vcc
	s_andn2_b64 exec, exec, s[4:5]
	s_cbranch_execz .LBB9_541
.LBB9_501:                              ; =>This Inner Loop Header: Depth=1
	global_load_dwordx4 v[0:3], v[8:9], off offset:-8
	s_waitcnt vmcnt(0)
	v_not_b32_e32 v7, v0
	v_and_b32_e32 v15, 0x7ffffc00, v7
	v_cmp_gt_i32_e32 vcc, 0, v0
	v_cndmask_b32_e32 v15, v15, v0, vcc
	v_xor_b32_e32 v15, v15, v10
	v_cmp_gt_u32_e32 vcc, s3, v15
	s_and_saveexec_b64 s[0:1], vcc
	s_cbranch_execz .LBB9_511
; %bb.502:                              ;   in Loop: Header=BB9_501 Depth=1
	v_ashrrev_i32_e32 v7, 31, v7
	v_xor_b32_e32 v0, v0, v7
	v_and_b32_e32 v0, 0x3ff, v0
	v_cmp_lt_u32_e32 vcc, v0, v11
	s_and_saveexec_b64 s[8:9], vcc
	s_cbranch_execz .LBB9_506
; %bb.503:                              ;   in Loop: Header=BB9_501 Depth=1
	s_mov_b64 s[12:13], exec
	v_mbcnt_lo_u32_b32 v7, s12, 0
	v_mbcnt_hi_u32_b32 v15, s13, v7
	v_cmp_eq_u32_e32 vcc, 0, v15
                                        ; implicit-def: $vgpr16
	s_and_saveexec_b64 s[10:11], vcc
	s_cbranch_execz .LBB9_505
; %bb.504:                              ;   in Loop: Header=BB9_501 Depth=1
	s_bcnt1_i32_b64 s12, s[12:13]
	v_mov_b32_e32 v7, s12
	ds_add_rtn_u32 v16, v12, v7 offset:16712
.LBB9_505:                              ;   in Loop: Header=BB9_501 Depth=1
	s_or_b64 exec, exec, s[10:11]
	v_ashrrev_i32_e32 v7, 31, v6
	v_lshlrev_b64 v[18:19], 2, v[6:7]
	v_mov_b32_e32 v7, s53
	v_add_co_u32_e32 v18, vcc, s52, v18
	v_addc_co_u32_e32 v19, vcc, v7, v19, vcc
	global_load_dword v7, v[18:19], off
	s_waitcnt lgkmcnt(0)
	v_readfirstlane_b32 s10, v16
	v_add_u32_e32 v15, s10, v15
	v_lshl_add_u32 v15, v15, 2, v5
	s_waitcnt vmcnt(0)
	ds_write_b32 v15, v7
.LBB9_506:                              ;   in Loop: Header=BB9_501 Depth=1
	s_or_b64 exec, exec, s[8:9]
	v_cmp_eq_u32_e32 vcc, v0, v11
	s_and_b64 exec, exec, vcc
	s_cbranch_execz .LBB9_511
; %bb.507:                              ;   in Loop: Header=BB9_501 Depth=1
	s_mov_b64 s[10:11], exec
	v_mbcnt_lo_u32_b32 v0, s10, 0
	v_mbcnt_hi_u32_b32 v0, s11, v0
	v_cmp_eq_u32_e32 vcc, 0, v0
                                        ; implicit-def: $vgpr7
	s_and_saveexec_b64 s[8:9], vcc
	s_cbranch_execz .LBB9_509
; %bb.508:                              ;   in Loop: Header=BB9_501 Depth=1
	s_bcnt1_i32_b64 s10, s[10:11]
	v_mov_b32_e32 v7, s10
	ds_add_rtn_u32 v7, v13, v7 offset:4224
.LBB9_509:                              ;   in Loop: Header=BB9_501 Depth=1
	s_or_b64 exec, exec, s[8:9]
	s_waitcnt lgkmcnt(0)
	v_readfirstlane_b32 s8, v7
	v_add_u32_e32 v0, s8, v0
	v_cmp_gt_i32_e32 vcc, s42, v0
	s_and_b64 exec, exec, vcc
	s_cbranch_execz .LBB9_511
; %bb.510:                              ;   in Loop: Header=BB9_501 Depth=1
	v_ashrrev_i32_e32 v7, 31, v6
	v_lshlrev_b64 v[16:17], 2, v[6:7]
	v_mov_b32_e32 v7, s53
	v_add_co_u32_e32 v16, vcc, s52, v16
	v_addc_co_u32_e32 v17, vcc, v7, v17, vcc
	global_load_dword v7, v[16:17], off
	v_lshl_add_u32 v0, v0, 2, v5
	s_waitcnt vmcnt(0)
	ds_write_b32 v0, v7
.LBB9_511:                              ;   in Loop: Header=BB9_501 Depth=1
	s_or_b64 exec, exec, s[0:1]
	v_not_b32_e32 v0, v1
	v_and_b32_e32 v7, 0x7ffffc00, v0
	v_cmp_gt_i32_e32 vcc, 0, v1
	v_cndmask_b32_e32 v7, v7, v1, vcc
	v_xor_b32_e32 v7, v7, v10
	v_cmp_gt_u32_e32 vcc, s3, v7
	s_and_saveexec_b64 s[0:1], vcc
	s_cbranch_execz .LBB9_521
; %bb.512:                              ;   in Loop: Header=BB9_501 Depth=1
	v_ashrrev_i32_e32 v0, 31, v0
	v_xor_b32_e32 v0, v1, v0
	v_and_b32_e32 v0, 0x3ff, v0
	v_cmp_lt_u32_e32 vcc, v0, v11
	s_and_saveexec_b64 s[8:9], vcc
	s_cbranch_execz .LBB9_516
; %bb.513:                              ;   in Loop: Header=BB9_501 Depth=1
	s_mov_b64 s[12:13], exec
	v_mbcnt_lo_u32_b32 v1, s12, 0
	v_mbcnt_hi_u32_b32 v1, s13, v1
	v_cmp_eq_u32_e32 vcc, 0, v1
                                        ; implicit-def: $vgpr15
	s_and_saveexec_b64 s[10:11], vcc
	s_cbranch_execz .LBB9_515
; %bb.514:                              ;   in Loop: Header=BB9_501 Depth=1
	s_bcnt1_i32_b64 s12, s[12:13]
	v_mov_b32_e32 v7, s12
	ds_add_rtn_u32 v15, v12, v7 offset:16712
.LBB9_515:                              ;   in Loop: Header=BB9_501 Depth=1
	s_or_b64 exec, exec, s[10:11]
	v_ashrrev_i32_e32 v7, 31, v6
	v_lshlrev_b64 v[16:17], 2, v[6:7]
	v_mov_b32_e32 v7, s16
	v_add_co_u32_e32 v16, vcc, s15, v16
	v_addc_co_u32_e32 v17, vcc, v7, v17, vcc
	global_load_dword v7, v[16:17], off
	s_waitcnt lgkmcnt(0)
	v_readfirstlane_b32 s10, v15
	v_add_u32_e32 v1, s10, v1
	v_lshl_add_u32 v1, v1, 2, v5
	s_waitcnt vmcnt(0)
	ds_write_b32 v1, v7
.LBB9_516:                              ;   in Loop: Header=BB9_501 Depth=1
	s_or_b64 exec, exec, s[8:9]
	v_cmp_eq_u32_e32 vcc, v0, v11
	s_and_b64 exec, exec, vcc
	s_cbranch_execz .LBB9_521
; %bb.517:                              ;   in Loop: Header=BB9_501 Depth=1
	s_mov_b64 s[10:11], exec
	v_mbcnt_lo_u32_b32 v0, s10, 0
	v_mbcnt_hi_u32_b32 v0, s11, v0
	v_cmp_eq_u32_e32 vcc, 0, v0
                                        ; implicit-def: $vgpr1
	s_and_saveexec_b64 s[8:9], vcc
	s_cbranch_execz .LBB9_519
; %bb.518:                              ;   in Loop: Header=BB9_501 Depth=1
	s_bcnt1_i32_b64 s10, s[10:11]
	v_mov_b32_e32 v1, s10
	ds_add_rtn_u32 v1, v13, v1 offset:4224
.LBB9_519:                              ;   in Loop: Header=BB9_501 Depth=1
	s_or_b64 exec, exec, s[8:9]
	s_waitcnt lgkmcnt(0)
	v_readfirstlane_b32 s8, v1
	v_add_u32_e32 v0, s8, v0
	v_cmp_gt_i32_e32 vcc, s42, v0
	s_and_b64 exec, exec, vcc
	s_cbranch_execz .LBB9_521
; %bb.520:                              ;   in Loop: Header=BB9_501 Depth=1
	v_ashrrev_i32_e32 v7, 31, v6
	v_lshlrev_b64 v[16:17], 2, v[6:7]
	v_mov_b32_e32 v1, s16
	v_add_co_u32_e32 v16, vcc, s15, v16
	v_addc_co_u32_e32 v17, vcc, v1, v17, vcc
	global_load_dword v1, v[16:17], off
	v_lshl_add_u32 v0, v0, 2, v5
	s_waitcnt vmcnt(0)
	ds_write_b32 v0, v1
.LBB9_521:                              ;   in Loop: Header=BB9_501 Depth=1
	s_or_b64 exec, exec, s[0:1]
	v_not_b32_e32 v0, v2
	v_and_b32_e32 v1, 0x7ffffc00, v0
	v_cmp_gt_i32_e32 vcc, 0, v2
	v_cndmask_b32_e32 v1, v1, v2, vcc
	v_xor_b32_e32 v1, v1, v10
	v_cmp_gt_u32_e32 vcc, s3, v1
	s_and_saveexec_b64 s[0:1], vcc
	s_cbranch_execz .LBB9_531
; %bb.522:                              ;   in Loop: Header=BB9_501 Depth=1
	v_ashrrev_i32_e32 v0, 31, v0
	v_xor_b32_e32 v0, v2, v0
	v_and_b32_e32 v0, 0x3ff, v0
	v_cmp_lt_u32_e32 vcc, v0, v11
	s_and_saveexec_b64 s[8:9], vcc
	s_cbranch_execz .LBB9_526
; %bb.523:                              ;   in Loop: Header=BB9_501 Depth=1
	s_mov_b64 s[12:13], exec
	v_mbcnt_lo_u32_b32 v1, s12, 0
	v_mbcnt_hi_u32_b32 v1, s13, v1
	v_cmp_eq_u32_e32 vcc, 0, v1
                                        ; implicit-def: $vgpr2
	s_and_saveexec_b64 s[10:11], vcc
	s_cbranch_execz .LBB9_525
; %bb.524:                              ;   in Loop: Header=BB9_501 Depth=1
	s_bcnt1_i32_b64 s12, s[12:13]
	v_mov_b32_e32 v2, s12
	ds_add_rtn_u32 v2, v12, v2 offset:16712
.LBB9_525:                              ;   in Loop: Header=BB9_501 Depth=1
	s_or_b64 exec, exec, s[10:11]
	v_ashrrev_i32_e32 v7, 31, v6
	v_lshlrev_b64 v[16:17], 2, v[6:7]
	v_mov_b32_e32 v7, s18
	v_add_co_u32_e32 v16, vcc, s17, v16
	v_addc_co_u32_e32 v17, vcc, v7, v17, vcc
	global_load_dword v7, v[16:17], off
	s_waitcnt lgkmcnt(0)
	v_readfirstlane_b32 s10, v2
	v_add_u32_e32 v1, s10, v1
	v_lshl_add_u32 v1, v1, 2, v5
	s_waitcnt vmcnt(0)
	ds_write_b32 v1, v7
.LBB9_526:                              ;   in Loop: Header=BB9_501 Depth=1
	s_or_b64 exec, exec, s[8:9]
	v_cmp_eq_u32_e32 vcc, v0, v11
	s_and_b64 exec, exec, vcc
	s_cbranch_execz .LBB9_531
; %bb.527:                              ;   in Loop: Header=BB9_501 Depth=1
	s_mov_b64 s[10:11], exec
	v_mbcnt_lo_u32_b32 v0, s10, 0
	v_mbcnt_hi_u32_b32 v0, s11, v0
	v_cmp_eq_u32_e32 vcc, 0, v0
                                        ; implicit-def: $vgpr1
	s_and_saveexec_b64 s[8:9], vcc
	s_cbranch_execz .LBB9_529
; %bb.528:                              ;   in Loop: Header=BB9_501 Depth=1
	s_bcnt1_i32_b64 s10, s[10:11]
	v_mov_b32_e32 v1, s10
	ds_add_rtn_u32 v1, v13, v1 offset:4224
.LBB9_529:                              ;   in Loop: Header=BB9_501 Depth=1
	s_or_b64 exec, exec, s[8:9]
	s_waitcnt lgkmcnt(0)
	v_readfirstlane_b32 s8, v1
	v_add_u32_e32 v0, s8, v0
	v_cmp_gt_i32_e32 vcc, s42, v0
	s_and_b64 exec, exec, vcc
	s_cbranch_execz .LBB9_531
; %bb.530:                              ;   in Loop: Header=BB9_501 Depth=1
	v_ashrrev_i32_e32 v7, 31, v6
	v_lshlrev_b64 v[16:17], 2, v[6:7]
	v_mov_b32_e32 v1, s18
	v_add_co_u32_e32 v16, vcc, s17, v16
	v_addc_co_u32_e32 v17, vcc, v1, v17, vcc
	global_load_dword v1, v[16:17], off
	v_lshl_add_u32 v0, v0, 2, v5
	s_waitcnt vmcnt(0)
	ds_write_b32 v0, v1
.LBB9_531:                              ;   in Loop: Header=BB9_501 Depth=1
	s_or_b64 exec, exec, s[0:1]
	v_not_b32_e32 v0, v3
	v_and_b32_e32 v1, 0x7ffffc00, v0
	v_cmp_gt_i32_e32 vcc, 0, v3
	v_cndmask_b32_e32 v1, v1, v3, vcc
	v_xor_b32_e32 v1, v1, v10
	v_cmp_gt_u32_e32 vcc, s3, v1
	s_and_saveexec_b64 s[0:1], vcc
	s_cbranch_execz .LBB9_500
; %bb.532:                              ;   in Loop: Header=BB9_501 Depth=1
	v_ashrrev_i32_e32 v0, 31, v0
	v_xor_b32_e32 v0, v3, v0
	v_and_b32_e32 v0, 0x3ff, v0
	v_cmp_lt_u32_e32 vcc, v0, v11
	s_and_saveexec_b64 s[8:9], vcc
	s_cbranch_execz .LBB9_536
; %bb.533:                              ;   in Loop: Header=BB9_501 Depth=1
	s_mov_b64 s[12:13], exec
	v_mbcnt_lo_u32_b32 v1, s12, 0
	v_mbcnt_hi_u32_b32 v1, s13, v1
	v_cmp_eq_u32_e32 vcc, 0, v1
                                        ; implicit-def: $vgpr2
	s_and_saveexec_b64 s[10:11], vcc
	s_cbranch_execz .LBB9_535
; %bb.534:                              ;   in Loop: Header=BB9_501 Depth=1
	s_bcnt1_i32_b64 s12, s[12:13]
	v_mov_b32_e32 v2, s12
	ds_add_rtn_u32 v2, v12, v2 offset:16712
.LBB9_535:                              ;   in Loop: Header=BB9_501 Depth=1
	s_or_b64 exec, exec, s[10:11]
	v_ashrrev_i32_e32 v7, 31, v6
	v_lshlrev_b64 v[16:17], 2, v[6:7]
	v_mov_b32_e32 v3, s20
	v_add_co_u32_e32 v16, vcc, s19, v16
	v_addc_co_u32_e32 v17, vcc, v3, v17, vcc
	global_load_dword v3, v[16:17], off
	s_waitcnt lgkmcnt(0)
	v_readfirstlane_b32 s10, v2
	v_add_u32_e32 v1, s10, v1
	v_lshl_add_u32 v1, v1, 2, v5
	s_waitcnt vmcnt(0)
	ds_write_b32 v1, v3
.LBB9_536:                              ;   in Loop: Header=BB9_501 Depth=1
	s_or_b64 exec, exec, s[8:9]
	v_cmp_eq_u32_e32 vcc, v0, v11
	s_and_b64 exec, exec, vcc
	s_cbranch_execz .LBB9_500
; %bb.537:                              ;   in Loop: Header=BB9_501 Depth=1
	s_mov_b64 s[10:11], exec
	v_mbcnt_lo_u32_b32 v0, s10, 0
	v_mbcnt_hi_u32_b32 v0, s11, v0
	v_cmp_eq_u32_e32 vcc, 0, v0
                                        ; implicit-def: $vgpr1
	s_and_saveexec_b64 s[8:9], vcc
	s_cbranch_execz .LBB9_539
; %bb.538:                              ;   in Loop: Header=BB9_501 Depth=1
	s_bcnt1_i32_b64 s10, s[10:11]
	v_mov_b32_e32 v1, s10
	ds_add_rtn_u32 v1, v13, v1 offset:4224
.LBB9_539:                              ;   in Loop: Header=BB9_501 Depth=1
	s_or_b64 exec, exec, s[8:9]
	s_waitcnt lgkmcnt(0)
	v_readfirstlane_b32 s8, v1
	v_add_u32_e32 v0, s8, v0
	v_cmp_gt_i32_e32 vcc, s42, v0
	s_and_b64 exec, exec, vcc
	s_cbranch_execz .LBB9_500
; %bb.540:                              ;   in Loop: Header=BB9_501 Depth=1
	v_ashrrev_i32_e32 v7, 31, v6
	v_lshlrev_b64 v[2:3], 2, v[6:7]
	v_mov_b32_e32 v1, s20
	v_add_co_u32_e32 v2, vcc, s19, v2
	v_addc_co_u32_e32 v3, vcc, v1, v3, vcc
	global_load_dword v1, v[2:3], off
	v_lshl_add_u32 v0, v0, 2, v5
	s_waitcnt vmcnt(0)
	ds_write_b32 v0, v1
	s_branch .LBB9_500
.LBB9_541:
	s_or_b64 exec, exec, s[6:7]
	v_cmp_gt_u32_e32 vcc, s2, v4
	s_and_saveexec_b64 s[0:1], vcc
	s_cbranch_execz .LBB9_552
; %bb.542:
	global_load_dword v0, v20, s[46:47]
	s_movk_i32 s3, 0x400
	s_waitcnt vmcnt(0)
	v_not_b32_e32 v1, v0
	v_and_b32_e32 v2, 0x7ffffc00, v1
	v_cmp_gt_i32_e32 vcc, 0, v0
	v_cndmask_b32_e32 v2, v2, v0, vcc
	v_xor_b32_e32 v2, v2, v10
	v_cmp_gt_u32_e32 vcc, s3, v2
	s_and_b64 exec, exec, vcc
	s_cbranch_execz .LBB9_552
; %bb.543:
	v_ashrrev_i32_e32 v1, 31, v1
	v_xor_b32_e32 v0, v0, v1
	v_and_b32_e32 v0, 0x3ff, v0
	s_waitcnt lgkmcnt(0)
	v_cmp_lt_u32_e32 vcc, v0, v11
	s_and_saveexec_b64 s[4:5], vcc
	s_cbranch_execz .LBB9_547
; %bb.544:
	s_mov_b64 s[8:9], exec
	v_mbcnt_lo_u32_b32 v1, s8, 0
	v_mbcnt_hi_u32_b32 v1, s9, v1
	v_cmp_eq_u32_e32 vcc, 0, v1
                                        ; implicit-def: $vgpr2
	s_and_saveexec_b64 s[6:7], vcc
	s_cbranch_execz .LBB9_546
; %bb.545:
	s_bcnt1_i32_b64 s3, s[8:9]
	v_mov_b32_e32 v2, 0
	v_mov_b32_e32 v3, s3
	ds_add_rtn_u32 v2, v2, v3 offset:16712
.LBB9_546:
	s_or_b64 exec, exec, s[6:7]
	global_load_dword v3, v20, s[52:53]
	s_waitcnt lgkmcnt(0)
	v_readfirstlane_b32 s3, v2
	v_add_u32_e32 v1, s3, v1
	v_mov_b32_e32 v2, 0x4150
	v_lshl_add_u32 v1, v1, 2, v2
	s_waitcnt vmcnt(0)
	ds_write_b32 v1, v3
.LBB9_547:
	s_or_b64 exec, exec, s[4:5]
	v_cmp_eq_u32_e32 vcc, v0, v11
	s_and_b64 exec, exec, vcc
	s_cbranch_execz .LBB9_552
; %bb.548:
	s_mov_b64 s[6:7], exec
	v_mbcnt_lo_u32_b32 v0, s6, 0
	v_mbcnt_hi_u32_b32 v0, s7, v0
	v_cmp_eq_u32_e32 vcc, 0, v0
                                        ; implicit-def: $vgpr1
	s_and_saveexec_b64 s[4:5], vcc
	s_cbranch_execz .LBB9_550
; %bb.549:
	s_bcnt1_i32_b64 s3, s[6:7]
	v_lshlrev_b32_e32 v1, 2, v11
	v_mov_b32_e32 v2, s3
	ds_add_rtn_u32 v1, v1, v2 offset:4224
.LBB9_550:
	s_or_b64 exec, exec, s[4:5]
	s_waitcnt lgkmcnt(0)
	v_readfirstlane_b32 s3, v1
	v_add_u32_e32 v0, s3, v0
	v_cmp_gt_i32_e32 vcc, s42, v0
	s_and_b64 exec, exec, vcc
	s_cbranch_execz .LBB9_552
; %bb.551:
	global_load_dword v1, v20, s[52:53]
	v_mov_b32_e32 v2, 0x4150
	v_lshl_add_u32 v0, v0, 2, v2
	s_waitcnt vmcnt(0)
	ds_write_b32 v0, v1
.LBB9_552:
	s_or_b64 exec, exec, s[0:1]
	s_lshl_b32 s0, s14, 2
	s_add_i32 s0, s0, s2
	v_add_u32_e32 v0, s0, v4
	v_cmp_gt_i32_e32 vcc, s62, v0
	s_and_saveexec_b64 s[0:1], vcc
	s_cbranch_execz .LBB9_563
; %bb.553:
	v_ashrrev_i32_e32 v1, 31, v0
	v_lshlrev_b64 v[0:1], 2, v[0:1]
	v_mov_b32_e32 v3, s47
	v_add_co_u32_e32 v2, vcc, s46, v0
	v_addc_co_u32_e32 v3, vcc, v3, v1, vcc
	global_load_dword v2, v[2:3], off
	s_movk_i32 s2, 0x400
	s_waitcnt vmcnt(0)
	v_not_b32_e32 v3, v2
	v_and_b32_e32 v5, 0x7ffffc00, v3
	v_cmp_gt_i32_e32 vcc, 0, v2
	v_cndmask_b32_e32 v5, v5, v2, vcc
	v_xor_b32_e32 v5, v5, v10
	v_cmp_gt_u32_e32 vcc, s2, v5
	s_and_b64 exec, exec, vcc
	s_cbranch_execz .LBB9_563
; %bb.554:
	v_ashrrev_i32_e32 v3, 31, v3
	v_xor_b32_e32 v2, v2, v3
	v_and_b32_e32 v2, 0x3ff, v2
	s_waitcnt lgkmcnt(0)
	v_cmp_lt_u32_e32 vcc, v2, v11
	s_and_saveexec_b64 s[2:3], vcc
	s_cbranch_execz .LBB9_558
; %bb.555:
	s_mov_b64 s[6:7], exec
	v_mbcnt_lo_u32_b32 v3, s6, 0
	v_mbcnt_hi_u32_b32 v3, s7, v3
	v_cmp_eq_u32_e32 vcc, 0, v3
                                        ; implicit-def: $vgpr5
	s_and_saveexec_b64 s[4:5], vcc
	s_cbranch_execz .LBB9_557
; %bb.556:
	s_bcnt1_i32_b64 s6, s[6:7]
	v_mov_b32_e32 v5, 0
	v_mov_b32_e32 v6, s6
	ds_add_rtn_u32 v5, v5, v6 offset:16712
.LBB9_557:
	s_or_b64 exec, exec, s[4:5]
	v_mov_b32_e32 v7, s53
	v_add_co_u32_e32 v6, vcc, s52, v0
	v_addc_co_u32_e32 v7, vcc, v7, v1, vcc
	global_load_dword v6, v[6:7], off
	s_waitcnt lgkmcnt(0)
	v_readfirstlane_b32 s4, v5
	v_add_u32_e32 v3, s4, v3
	v_mov_b32_e32 v5, 0x4150
	v_lshl_add_u32 v3, v3, 2, v5
	s_waitcnt vmcnt(0)
	ds_write_b32 v3, v6
.LBB9_558:
	s_or_b64 exec, exec, s[2:3]
	v_cmp_eq_u32_e32 vcc, v2, v11
	s_and_b64 exec, exec, vcc
	s_cbranch_execz .LBB9_563
; %bb.559:
	s_mov_b64 s[4:5], exec
	v_mbcnt_lo_u32_b32 v2, s4, 0
	v_mbcnt_hi_u32_b32 v2, s5, v2
	v_cmp_eq_u32_e32 vcc, 0, v2
                                        ; implicit-def: $vgpr3
	s_and_saveexec_b64 s[2:3], vcc
	s_cbranch_execz .LBB9_561
; %bb.560:
	s_bcnt1_i32_b64 s4, s[4:5]
	v_lshlrev_b32_e32 v3, 2, v11
	v_mov_b32_e32 v5, s4
	ds_add_rtn_u32 v3, v3, v5 offset:4224
.LBB9_561:
	s_or_b64 exec, exec, s[2:3]
	s_waitcnt lgkmcnt(0)
	v_readfirstlane_b32 s2, v3
	v_add_u32_e32 v2, s2, v2
	v_cmp_gt_i32_e32 vcc, s42, v2
	s_and_b64 exec, exec, vcc
	s_cbranch_execz .LBB9_563
; %bb.562:
	v_mov_b32_e32 v3, s53
	v_add_co_u32_e32 v0, vcc, s52, v0
	v_addc_co_u32_e32 v1, vcc, v3, v1, vcc
	global_load_dword v0, v[0:1], off
	v_mov_b32_e32 v1, 0x4150
	v_lshl_add_u32 v1, v2, 2, v1
	s_waitcnt vmcnt(0)
	ds_write_b32 v1, v0
.LBB9_563:
	s_or_b64 exec, exec, s[0:1]
.LBB9_564:
	s_waitcnt lgkmcnt(0)
	s_barrier
	v_cmp_gt_i32_e32 vcc, s42, v4
	s_and_saveexec_b64 s[0:1], vcc
	s_cbranch_execz .LBB9_577
.LBB9_565:
	v_xad_u32 v0, v4, -1, s42
	s_movk_i32 s0, 0x3ff
	v_cmp_lt_u32_e32 vcc, s0, v0
	s_mov_b64 s[0:1], -1
	s_and_saveexec_b64 s[2:3], vcc
	s_cbranch_execz .LBB9_574
; %bb.566:
	v_lshrrev_b32_e32 v21, 10, v0
	v_add_u32_e32 v0, -1, v21
	v_or_b32_e32 v5, 0x400, v4
	v_lshrrev_b32_e32 v1, 1, v0
	v_add_u32_e32 v22, 1, v1
	v_cmp_lt_u32_e32 vcc, 13, v0
	v_mov_b32_e32 v14, 0
	v_pk_mov_b32 v[0:1], v[4:5], v[4:5] op_sel:[0,1]
	s_and_saveexec_b64 s[4:5], vcc
	s_cbranch_execz .LBB9_570
; %bb.567:
	v_mov_b32_e32 v0, 0x4150
	v_and_b32_e32 v23, -8, v22
	v_lshl_add_u32 v24, v4, 2, v0
	s_mov_b32 s8, 0
	s_mov_b64 s[6:7], 0
	v_mov_b32_e32 v25, s43
	v_mov_b32_e32 v3, 0
	v_pk_mov_b32 v[0:1], v[4:5], v[4:5] op_sel:[0,1]
.LBB9_568:                              ; =>This Inner Loop Header: Depth=1
	v_mov_b32_e32 v2, v0
	v_add_u32_e32 v23, -8, v23
	v_lshlrev_b64 v[42:43], 2, v[2:3]
	v_mov_b32_e32 v2, v1
	ds_read2st64_b32 v[6:7], v24 offset1:16
	s_add_i32 s8, s8, 16
	v_cmp_eq_u32_e32 vcc, 0, v23
	v_lshlrev_b64 v[46:47], 2, v[2:3]
	v_add_u32_e32 v2, 0x800, v0
	s_or_b64 s[6:7], vcc, s[6:7]
	v_add_co_u32_e32 v46, vcc, s33, v46
	v_add_u32_e32 v14, 0x800, v1
	ds_read2st64_b32 v[8:9], v24 offset0:32 offset1:48
	v_mov_b32_e32 v15, v3
	ds_read2st64_b32 v[10:11], v24 offset0:64 offset1:80
	v_add_co_u32_e64 v42, s[0:1], s33, v42
	v_addc_co_u32_e32 v47, vcc, v25, v47, vcc
	v_lshlrev_b64 v[48:49], 2, v[2:3]
	v_lshlrev_b64 v[44:45], 2, v[14:15]
	v_addc_co_u32_e64 v43, s[0:1], v25, v43, s[0:1]
	v_add_u32_e32 v2, 0x1000, v0
	v_add_co_u32_e32 v48, vcc, s33, v48
	v_add_u32_e32 v26, 0x1000, v1
	v_mov_b32_e32 v27, v3
	ds_read2st64_b32 v[12:13], v24 offset0:96 offset1:112
	v_add_co_u32_e64 v44, s[0:1], s33, v44
	v_addc_co_u32_e32 v49, vcc, v25, v49, vcc
	v_lshlrev_b64 v[50:51], 2, v[2:3]
	ds_read2st64_b32 v[16:17], v24 offset0:128 offset1:144
	ds_read2st64_b32 v[18:19], v24 offset0:160 offset1:176
	;; [unrolled: 1-line block ×4, first 2 shown]
	v_lshlrev_b64 v[26:27], 2, v[26:27]
	v_addc_co_u32_e64 v45, s[0:1], v25, v45, s[0:1]
	v_add_u32_e32 v2, 0x1800, v0
	s_waitcnt lgkmcnt(7)
	global_store_dword v[42:43], v6, off
	global_store_dword v[46:47], v7, off
	s_waitcnt lgkmcnt(6)
	global_store_dword v[48:49], v8, off
	global_store_dword v[44:45], v9, off
	v_add_co_u32_e32 v6, vcc, s33, v50
	v_add_u32_e32 v28, 0x1800, v1
	v_mov_b32_e32 v29, v3
	v_add_co_u32_e64 v26, s[0:1], s33, v26
	v_addc_co_u32_e32 v7, vcc, v25, v51, vcc
	v_lshlrev_b64 v[8:9], 2, v[2:3]
	v_lshlrev_b64 v[28:29], 2, v[28:29]
	v_addc_co_u32_e64 v27, s[0:1], v25, v27, s[0:1]
	v_add_u32_e32 v2, 0x2000, v0
	s_waitcnt lgkmcnt(5)
	global_store_dword v[6:7], v10, off
	global_store_dword v[26:27], v11, off
	v_add_co_u32_e32 v6, vcc, s33, v8
	v_add_u32_e32 v30, 0x2000, v1
	v_mov_b32_e32 v31, v3
	v_add_co_u32_e64 v28, s[0:1], s33, v28
	v_addc_co_u32_e32 v7, vcc, v25, v9, vcc
	v_lshlrev_b64 v[8:9], 2, v[2:3]
	v_lshlrev_b64 v[30:31], 2, v[30:31]
	v_addc_co_u32_e64 v29, s[0:1], v25, v29, s[0:1]
	v_add_u32_e32 v2, 0x2800, v0
	;; [unrolled: 12-line block ×4, first 2 shown]
	s_waitcnt lgkmcnt(2)
	global_store_dword v[6:7], v18, off
	global_store_dword v[32:33], v19, off
	v_add_co_u32_e32 v6, vcc, s33, v8
	v_add_u32_e32 v38, 0x3800, v1
	v_mov_b32_e32 v39, v3
	v_add_co_u32_e64 v34, s[0:1], s33, v34
	v_addc_co_u32_e32 v7, vcc, v25, v9, vcc
	v_lshlrev_b64 v[8:9], 2, v[2:3]
	v_lshlrev_b64 v[38:39], 2, v[38:39]
	v_addc_co_u32_e64 v35, s[0:1], v25, v35, s[0:1]
	s_waitcnt lgkmcnt(1)
	global_store_dword v[6:7], v36, off
	global_store_dword v[34:35], v37, off
	v_add_co_u32_e32 v6, vcc, s33, v8
	v_add_u32_e32 v24, 0x10000, v24
	v_add_u32_e32 v1, 0x4000, v1
	v_mov_b32_e32 v14, s8
	v_add_co_u32_e64 v38, s[0:1], s33, v38
	v_add_u32_e32 v0, 0x4000, v0
	v_addc_co_u32_e32 v7, vcc, v25, v9, vcc
	v_addc_co_u32_e64 v39, s[0:1], v25, v39, s[0:1]
	s_waitcnt lgkmcnt(0)
	global_store_dword v[6:7], v40, off
	global_store_dword v[38:39], v41, off
	s_andn2_b64 exec, exec, s[6:7]
	s_cbranch_execnz .LBB9_568
; %bb.569:
	s_or_b64 exec, exec, s[6:7]
.LBB9_570:
	s_or_b64 exec, exec, s[4:5]
	v_and_b32_e32 v5, 7, v22
	v_cmp_ne_u32_e32 vcc, 0, v5
	s_and_saveexec_b64 s[4:5], vcc
	s_cbranch_execz .LBB9_573
; %bb.571:
	v_lshl_or_b32 v2, v14, 12, v20
	v_add_u32_e32 v6, 0x4150, v2
	s_mov_b64 s[6:7], 0
	v_mov_b32_e32 v7, s43
	v_mov_b32_e32 v3, 0
.LBB9_572:                              ; =>This Inner Loop Header: Depth=1
	ds_read2st64_b32 v[8:9], v6 offset1:16
	v_mov_b32_e32 v2, v0
	v_add_u32_e32 v5, -1, v5
	v_lshlrev_b64 v[10:11], 2, v[2:3]
	v_mov_b32_e32 v2, v1
	v_cmp_eq_u32_e32 vcc, 0, v5
	v_add_co_u32_e64 v10, s[0:1], s33, v10
	v_lshlrev_b64 v[12:13], 2, v[2:3]
	v_add_u32_e32 v0, 0x800, v0
	v_add_u32_e32 v6, 0x2000, v6
	;; [unrolled: 1-line block ×3, first 2 shown]
	v_addc_co_u32_e64 v11, s[0:1], v7, v11, s[0:1]
	s_or_b64 s[6:7], vcc, s[6:7]
	v_add_co_u32_e32 v12, vcc, s33, v12
	v_addc_co_u32_e32 v13, vcc, v7, v13, vcc
	s_waitcnt lgkmcnt(0)
	global_store_dword v[10:11], v8, off
	global_store_dword v[12:13], v9, off
	s_andn2_b64 exec, exec, s[6:7]
	s_cbranch_execnz .LBB9_572
.LBB9_573:
	s_or_b64 exec, exec, s[4:5]
	v_add_u32_e32 v0, 1, v21
	v_and_b32_e32 v1, 0x7ffffe, v0
	v_cmp_ne_u32_e32 vcc, v0, v1
	v_lshl_or_b32 v4, v1, 10, v4
	s_orn2_b64 s[0:1], vcc, exec
.LBB9_574:
	s_or_b64 exec, exec, s[2:3]
	s_and_b64 exec, exec, s[0:1]
	s_cbranch_execz .LBB9_577
; %bb.575:
	v_mov_b32_e32 v0, 0x4150
	v_mov_b32_e32 v5, 0
	s_add_u32 s0, s38, s44
	v_lshl_add_u32 v2, v4, 2, v0
	v_lshlrev_b64 v[0:1], 2, v[4:5]
	s_addc_u32 s1, s39, s45
	v_mov_b32_e32 v3, s1
	v_add_co_u32_e32 v0, vcc, s0, v0
	v_addc_co_u32_e32 v1, vcc, v3, v1, vcc
	s_mov_b64 s[0:1], 0
.LBB9_576:                              ; =>This Inner Loop Header: Depth=1
	ds_read_b32 v3, v2
	v_add_u32_e32 v4, 0x400, v4
	v_cmp_le_i32_e32 vcc, s42, v4
	s_or_b64 s[0:1], vcc, s[0:1]
	v_add_u32_e32 v2, 0x1000, v2
	s_waitcnt lgkmcnt(0)
	global_store_dword v[0:1], v3, off
	v_add_co_u32_e32 v0, vcc, 0x1000, v0
	v_addc_co_u32_e32 v1, vcc, 0, v1, vcc
	s_andn2_b64 exec, exec, s[0:1]
	s_cbranch_execnz .LBB9_576
.LBB9_577:
	s_endpgm
	.section	.rodata,"a",@progbits
	.p2align	6, 0x0
	.amdhsa_kernel _ZN4vllmL16topKPerRowDecodeILi1024ELb1ELb0ELb1EEEvPKfPKiPiiiiiiPfiS4_
		.amdhsa_group_segment_fixed_size 16720
		.amdhsa_private_segment_fixed_size 0
		.amdhsa_kernarg_size 328
		.amdhsa_user_sgpr_count 6
		.amdhsa_user_sgpr_private_segment_buffer 1
		.amdhsa_user_sgpr_dispatch_ptr 0
		.amdhsa_user_sgpr_queue_ptr 0
		.amdhsa_user_sgpr_kernarg_segment_ptr 1
		.amdhsa_user_sgpr_dispatch_id 0
		.amdhsa_user_sgpr_flat_scratch_init 0
		.amdhsa_user_sgpr_kernarg_preload_length 0
		.amdhsa_user_sgpr_kernarg_preload_offset 0
		.amdhsa_user_sgpr_private_segment_size 0
		.amdhsa_uses_dynamic_stack 0
		.amdhsa_system_sgpr_private_segment_wavefront_offset 0
		.amdhsa_system_sgpr_workgroup_id_x 1
		.amdhsa_system_sgpr_workgroup_id_y 0
		.amdhsa_system_sgpr_workgroup_id_z 0
		.amdhsa_system_sgpr_workgroup_info 0
		.amdhsa_system_vgpr_workitem_id 2
		.amdhsa_next_free_vgpr 52
		.amdhsa_next_free_sgpr 66
		.amdhsa_accum_offset 52
		.amdhsa_reserve_vcc 1
		.amdhsa_reserve_flat_scratch 0
		.amdhsa_float_round_mode_32 0
		.amdhsa_float_round_mode_16_64 0
		.amdhsa_float_denorm_mode_32 3
		.amdhsa_float_denorm_mode_16_64 3
		.amdhsa_dx10_clamp 1
		.amdhsa_ieee_mode 1
		.amdhsa_fp16_overflow 0
		.amdhsa_tg_split 0
		.amdhsa_exception_fp_ieee_invalid_op 0
		.amdhsa_exception_fp_denorm_src 0
		.amdhsa_exception_fp_ieee_div_zero 0
		.amdhsa_exception_fp_ieee_overflow 0
		.amdhsa_exception_fp_ieee_underflow 0
		.amdhsa_exception_fp_ieee_inexact 0
		.amdhsa_exception_int_div_zero 0
	.end_amdhsa_kernel
	.section	.text._ZN4vllmL16topKPerRowDecodeILi1024ELb1ELb0ELb1EEEvPKfPKiPiiiiiiPfiS4_,"axG",@progbits,_ZN4vllmL16topKPerRowDecodeILi1024ELb1ELb0ELb1EEEvPKfPKiPiiiiiiPfiS4_,comdat
.Lfunc_end9:
	.size	_ZN4vllmL16topKPerRowDecodeILi1024ELb1ELb0ELb1EEEvPKfPKiPiiiiiiPfiS4_, .Lfunc_end9-_ZN4vllmL16topKPerRowDecodeILi1024ELb1ELb0ELb1EEEvPKfPKiPiiiiiiPfiS4_
                                        ; -- End function
	.section	.AMDGPU.csdata,"",@progbits
; Kernel info:
; codeLenInByte = 26776
; NumSgprs: 70
; NumVgprs: 52
; NumAgprs: 0
; TotalNumVgprs: 52
; ScratchSize: 0
; MemoryBound: 0
; FloatMode: 240
; IeeeMode: 1
; LDSByteSize: 16720 bytes/workgroup (compile time only)
; SGPRBlocks: 8
; VGPRBlocks: 6
; NumSGPRsForWavesPerEU: 70
; NumVGPRsForWavesPerEU: 52
; AccumOffset: 52
; Occupancy: 8
; WaveLimiterHint : 0
; COMPUTE_PGM_RSRC2:SCRATCH_EN: 0
; COMPUTE_PGM_RSRC2:USER_SGPR: 6
; COMPUTE_PGM_RSRC2:TRAP_HANDLER: 0
; COMPUTE_PGM_RSRC2:TGID_X_EN: 1
; COMPUTE_PGM_RSRC2:TGID_Y_EN: 0
; COMPUTE_PGM_RSRC2:TGID_Z_EN: 0
; COMPUTE_PGM_RSRC2:TIDIG_COMP_CNT: 2
; COMPUTE_PGM_RSRC3_GFX90A:ACCUM_OFFSET: 12
; COMPUTE_PGM_RSRC3_GFX90A:TG_SPLIT: 0
	.section	.text._ZN4vllmL17topKPerRowPrefillILi512ELb0EEEvPKfPKiS4_Piiiii,"axG",@progbits,_ZN4vllmL17topKPerRowPrefillILi512ELb0EEEvPKfPKiS4_Piiiii,comdat
	.globl	_ZN4vllmL17topKPerRowPrefillILi512ELb0EEEvPKfPKiS4_Piiiii ; -- Begin function _ZN4vllmL17topKPerRowPrefillILi512ELb0EEEvPKfPKiS4_Piiiii
	.p2align	8
	.type	_ZN4vllmL17topKPerRowPrefillILi512ELb0EEEvPKfPKiS4_Piiiii,@function
_ZN4vllmL17topKPerRowPrefillILi512ELb0EEEvPKfPKiS4_Piiiii: ; @_ZN4vllmL17topKPerRowPrefillILi512ELb0EEEvPKfPKiS4_Piiiii
; %bb.0:
	s_load_dwordx4 s[16:19], s[4:5], 0x20
	s_load_dwordx8 s[20:27], s[4:5], 0x0
	s_add_u32 flat_scratch_lo, s6, s11
	s_addc_u32 flat_scratch_hi, s7, 0
	s_add_u32 s0, s0, s11
	s_addc_u32 s1, s1, 0
	s_waitcnt lgkmcnt(0)
	s_add_i32 s6, s8, s19
	s_ashr_i32 s7, s6, 31
	s_mov_b32 s13, s9
	s_mov_b32 s12, s8
	s_lshl_b64 s[8:9], s[6:7], 2
	s_add_u32 s14, s22, s8
	s_addc_u32 s15, s23, s9
	s_add_u32 s8, s24, s8
	s_addc_u32 s9, s25, s9
	s_load_dword s19, s[8:9], 0x0
	s_mul_hi_i32 s9, s6, s18
	s_mul_i32 s8, s6, s18
	s_lshl_b64 s[8:9], s[8:9], 2
	s_load_dword s11, s[14:15], 0x0
	s_add_u32 s22, s26, s8
	s_mul_hi_i32 s7, s6, s16
	s_mul_i32 s6, s6, s16
	s_addc_u32 s23, s27, s9
	s_lshl_b64 s[6:7], s[6:7], 2
	s_add_u32 s6, s20, s6
	s_addc_u32 s7, s21, s7
	s_add_u32 s8, s4, 48
	s_addc_u32 s9, s5, 0
	s_mov_b32 s14, s10
	s_mov_b32 s15, 3
	v_mov_b32_e32 v31, v0
	v_mov_b32_e32 v0, s6
	;; [unrolled: 1-line block ×3, first 2 shown]
	s_waitcnt lgkmcnt(0)
	v_mov_b32_e32 v2, s11
	v_mov_b32_e32 v3, s19
	v_mov_b32_e32 v4, s22
	v_mov_b32_e32 v5, s23
	v_mov_b32_e32 v6, s17
	v_mov_b32_e32 v7, s18
	s_mov_b32 s32, 0
	s_getpc_b64 s[4:5]
	s_add_u32 s4, s4, _ZN4vllmL13topKPerRowJobILi512ELi2048ELb0ELb0ELb0EEEvPKiPKfiiPiPfii@rel32@lo+4
	s_addc_u32 s5, s5, _ZN4vllmL13topKPerRowJobILi512ELi2048ELb0ELb0ELb0EEEvPKiPKfiiPiPfii@rel32@hi+12
	s_swappc_b64 s[30:31], s[4:5]
	s_endpgm
	.section	.rodata,"a",@progbits
	.p2align	6, 0x0
	.amdhsa_kernel _ZN4vllmL17topKPerRowPrefillILi512ELb0EEEvPKfPKiS4_Piiiii
		.amdhsa_group_segment_fixed_size 33056
		.amdhsa_private_segment_fixed_size 8
		.amdhsa_kernarg_size 304
		.amdhsa_user_sgpr_count 8
		.amdhsa_user_sgpr_private_segment_buffer 1
		.amdhsa_user_sgpr_dispatch_ptr 0
		.amdhsa_user_sgpr_queue_ptr 0
		.amdhsa_user_sgpr_kernarg_segment_ptr 1
		.amdhsa_user_sgpr_dispatch_id 0
		.amdhsa_user_sgpr_flat_scratch_init 1
		.amdhsa_user_sgpr_kernarg_preload_length 0
		.amdhsa_user_sgpr_kernarg_preload_offset 0
		.amdhsa_user_sgpr_private_segment_size 0
		.amdhsa_uses_dynamic_stack 0
		.amdhsa_system_sgpr_private_segment_wavefront_offset 1
		.amdhsa_system_sgpr_workgroup_id_x 1
		.amdhsa_system_sgpr_workgroup_id_y 1
		.amdhsa_system_sgpr_workgroup_id_z 1
		.amdhsa_system_sgpr_workgroup_info 0
		.amdhsa_system_vgpr_workitem_id 2
		.amdhsa_next_free_vgpr 37
		.amdhsa_next_free_sgpr 55
		.amdhsa_accum_offset 40
		.amdhsa_reserve_vcc 1
		.amdhsa_reserve_flat_scratch 1
		.amdhsa_float_round_mode_32 0
		.amdhsa_float_round_mode_16_64 0
		.amdhsa_float_denorm_mode_32 3
		.amdhsa_float_denorm_mode_16_64 3
		.amdhsa_dx10_clamp 1
		.amdhsa_ieee_mode 1
		.amdhsa_fp16_overflow 0
		.amdhsa_tg_split 0
		.amdhsa_exception_fp_ieee_invalid_op 0
		.amdhsa_exception_fp_denorm_src 0
		.amdhsa_exception_fp_ieee_div_zero 0
		.amdhsa_exception_fp_ieee_overflow 0
		.amdhsa_exception_fp_ieee_underflow 0
		.amdhsa_exception_fp_ieee_inexact 0
		.amdhsa_exception_int_div_zero 0
	.end_amdhsa_kernel
	.section	.text._ZN4vllmL17topKPerRowPrefillILi512ELb0EEEvPKfPKiS4_Piiiii,"axG",@progbits,_ZN4vllmL17topKPerRowPrefillILi512ELb0EEEvPKfPKiS4_Piiiii,comdat
.Lfunc_end10:
	.size	_ZN4vllmL17topKPerRowPrefillILi512ELb0EEEvPKfPKiS4_Piiiii, .Lfunc_end10-_ZN4vllmL17topKPerRowPrefillILi512ELb0EEEvPKfPKiS4_Piiiii
                                        ; -- End function
	.section	.AMDGPU.csdata,"",@progbits
; Kernel info:
; codeLenInByte = 216
; NumSgprs: 61
; NumVgprs: 37
; NumAgprs: 0
; TotalNumVgprs: 37
; ScratchSize: 8
; MemoryBound: 0
; FloatMode: 240
; IeeeMode: 1
; LDSByteSize: 33056 bytes/workgroup (compile time only)
; SGPRBlocks: 7
; VGPRBlocks: 4
; NumSGPRsForWavesPerEU: 61
; NumVGPRsForWavesPerEU: 37
; AccumOffset: 40
; Occupancy: 2
; WaveLimiterHint : 0
; COMPUTE_PGM_RSRC2:SCRATCH_EN: 1
; COMPUTE_PGM_RSRC2:USER_SGPR: 8
; COMPUTE_PGM_RSRC2:TRAP_HANDLER: 0
; COMPUTE_PGM_RSRC2:TGID_X_EN: 1
; COMPUTE_PGM_RSRC2:TGID_Y_EN: 1
; COMPUTE_PGM_RSRC2:TGID_Z_EN: 1
; COMPUTE_PGM_RSRC2:TIDIG_COMP_CNT: 2
; COMPUTE_PGM_RSRC3_GFX90A:ACCUM_OFFSET: 9
; COMPUTE_PGM_RSRC3_GFX90A:TG_SPLIT: 0
	.section	.text._ZN4vllmL17topKPerRowPrefillILi512ELb1EEEvPKfPKiS4_Piiiii,"axG",@progbits,_ZN4vllmL17topKPerRowPrefillILi512ELb1EEEvPKfPKiS4_Piiiii,comdat
	.globl	_ZN4vllmL17topKPerRowPrefillILi512ELb1EEEvPKfPKiS4_Piiiii ; -- Begin function _ZN4vllmL17topKPerRowPrefillILi512ELb1EEEvPKfPKiS4_Piiiii
	.p2align	8
	.type	_ZN4vllmL17topKPerRowPrefillILi512ELb1EEEvPKfPKiS4_Piiiii,@function
_ZN4vllmL17topKPerRowPrefillILi512ELb1EEEvPKfPKiS4_Piiiii: ; @_ZN4vllmL17topKPerRowPrefillILi512ELb1EEEvPKfPKiS4_Piiiii
; %bb.0:
	s_load_dwordx4 s[16:19], s[4:5], 0x20
	s_load_dwordx8 s[20:27], s[4:5], 0x0
	s_add_u32 flat_scratch_lo, s6, s11
	s_addc_u32 flat_scratch_hi, s7, 0
	s_add_u32 s0, s0, s11
	s_addc_u32 s1, s1, 0
	s_waitcnt lgkmcnt(0)
	s_add_i32 s6, s8, s19
	s_ashr_i32 s7, s6, 31
	s_mov_b32 s13, s9
	s_mov_b32 s12, s8
	s_lshl_b64 s[8:9], s[6:7], 2
	s_add_u32 s14, s22, s8
	s_addc_u32 s15, s23, s9
	s_add_u32 s8, s24, s8
	s_addc_u32 s9, s25, s9
	s_load_dword s19, s[8:9], 0x0
	s_mul_hi_i32 s9, s6, s18
	s_mul_i32 s8, s6, s18
	s_lshl_b64 s[8:9], s[8:9], 2
	s_load_dword s11, s[14:15], 0x0
	s_add_u32 s22, s26, s8
	s_mul_hi_i32 s7, s6, s16
	s_mul_i32 s6, s6, s16
	s_addc_u32 s23, s27, s9
	s_lshl_b64 s[6:7], s[6:7], 2
	s_add_u32 s6, s20, s6
	s_addc_u32 s7, s21, s7
	s_add_u32 s8, s4, 48
	s_addc_u32 s9, s5, 0
	s_mov_b32 s14, s10
	s_mov_b32 s15, 4
	v_mov_b32_e32 v31, v0
	v_mov_b32_e32 v0, s6
	;; [unrolled: 1-line block ×3, first 2 shown]
	s_waitcnt lgkmcnt(0)
	v_mov_b32_e32 v2, s11
	v_mov_b32_e32 v3, s19
	v_mov_b32_e32 v4, s22
	v_mov_b32_e32 v5, s23
	v_mov_b32_e32 v6, s17
	v_mov_b32_e32 v7, s18
	s_mov_b32 s32, 0
	s_getpc_b64 s[4:5]
	s_add_u32 s4, s4, _ZN4vllmL13topKPerRowJobILi512ELi2048ELb1ELb0ELb0EEEvPKiPKfiiPiPfii@rel32@lo+4
	s_addc_u32 s5, s5, _ZN4vllmL13topKPerRowJobILi512ELi2048ELb1ELb0ELb0EEEvPKiPKfiiPiPfii@rel32@hi+12
	s_swappc_b64 s[30:31], s[4:5]
	s_endpgm
	.section	.rodata,"a",@progbits
	.p2align	6, 0x0
	.amdhsa_kernel _ZN4vllmL17topKPerRowPrefillILi512ELb1EEEvPKfPKiS4_Piiiii
		.amdhsa_group_segment_fixed_size 33056
		.amdhsa_private_segment_fixed_size 8
		.amdhsa_kernarg_size 304
		.amdhsa_user_sgpr_count 8
		.amdhsa_user_sgpr_private_segment_buffer 1
		.amdhsa_user_sgpr_dispatch_ptr 0
		.amdhsa_user_sgpr_queue_ptr 0
		.amdhsa_user_sgpr_kernarg_segment_ptr 1
		.amdhsa_user_sgpr_dispatch_id 0
		.amdhsa_user_sgpr_flat_scratch_init 1
		.amdhsa_user_sgpr_kernarg_preload_length 0
		.amdhsa_user_sgpr_kernarg_preload_offset 0
		.amdhsa_user_sgpr_private_segment_size 0
		.amdhsa_uses_dynamic_stack 0
		.amdhsa_system_sgpr_private_segment_wavefront_offset 1
		.amdhsa_system_sgpr_workgroup_id_x 1
		.amdhsa_system_sgpr_workgroup_id_y 1
		.amdhsa_system_sgpr_workgroup_id_z 1
		.amdhsa_system_sgpr_workgroup_info 0
		.amdhsa_system_vgpr_workitem_id 2
		.amdhsa_next_free_vgpr 82
		.amdhsa_next_free_sgpr 59
		.amdhsa_accum_offset 84
		.amdhsa_reserve_vcc 1
		.amdhsa_reserve_flat_scratch 1
		.amdhsa_float_round_mode_32 0
		.amdhsa_float_round_mode_16_64 0
		.amdhsa_float_denorm_mode_32 3
		.amdhsa_float_denorm_mode_16_64 3
		.amdhsa_dx10_clamp 1
		.amdhsa_ieee_mode 1
		.amdhsa_fp16_overflow 0
		.amdhsa_tg_split 0
		.amdhsa_exception_fp_ieee_invalid_op 0
		.amdhsa_exception_fp_denorm_src 0
		.amdhsa_exception_fp_ieee_div_zero 0
		.amdhsa_exception_fp_ieee_overflow 0
		.amdhsa_exception_fp_ieee_underflow 0
		.amdhsa_exception_fp_ieee_inexact 0
		.amdhsa_exception_int_div_zero 0
	.end_amdhsa_kernel
	.section	.text._ZN4vllmL17topKPerRowPrefillILi512ELb1EEEvPKfPKiS4_Piiiii,"axG",@progbits,_ZN4vllmL17topKPerRowPrefillILi512ELb1EEEvPKfPKiS4_Piiiii,comdat
.Lfunc_end11:
	.size	_ZN4vllmL17topKPerRowPrefillILi512ELb1EEEvPKfPKiS4_Piiiii, .Lfunc_end11-_ZN4vllmL17topKPerRowPrefillILi512ELb1EEEvPKfPKiS4_Piiiii
                                        ; -- End function
	.section	.AMDGPU.csdata,"",@progbits
; Kernel info:
; codeLenInByte = 216
; NumSgprs: 65
; NumVgprs: 82
; NumAgprs: 0
; TotalNumVgprs: 82
; ScratchSize: 8
; MemoryBound: 0
; FloatMode: 240
; IeeeMode: 1
; LDSByteSize: 33056 bytes/workgroup (compile time only)
; SGPRBlocks: 8
; VGPRBlocks: 10
; NumSGPRsForWavesPerEU: 65
; NumVGPRsForWavesPerEU: 82
; AccumOffset: 84
; Occupancy: 2
; WaveLimiterHint : 0
; COMPUTE_PGM_RSRC2:SCRATCH_EN: 1
; COMPUTE_PGM_RSRC2:USER_SGPR: 8
; COMPUTE_PGM_RSRC2:TRAP_HANDLER: 0
; COMPUTE_PGM_RSRC2:TGID_X_EN: 1
; COMPUTE_PGM_RSRC2:TGID_Y_EN: 1
; COMPUTE_PGM_RSRC2:TGID_Z_EN: 1
; COMPUTE_PGM_RSRC2:TIDIG_COMP_CNT: 2
; COMPUTE_PGM_RSRC3_GFX90A:ACCUM_OFFSET: 20
; COMPUTE_PGM_RSRC3_GFX90A:TG_SPLIT: 0
	.text
	.p2alignl 6, 3212836864
	.fill 256, 4, 3212836864
	.type	__hip_cuid_5482386d38c098bf,@object ; @__hip_cuid_5482386d38c098bf
	.section	.bss,"aw",@nobits
	.globl	__hip_cuid_5482386d38c098bf
__hip_cuid_5482386d38c098bf:
	.byte	0                               ; 0x0
	.size	__hip_cuid_5482386d38c098bf, 1

	.type	llvm.amdgcn.dynlds.offset.table,@object ; @llvm.amdgcn.dynlds.offset.table
	.section	.data.rel.ro,"aw",@progbits
	.p2align	4, 0x0
llvm.amdgcn.dynlds.offset.table:
	.long	33056
	.long	33056
	;; [unrolled: 1-line block ×5, first 2 shown]
	.size	llvm.amdgcn.dynlds.offset.table, 20

	.ident	"AMD clang version 19.0.0git (https://github.com/RadeonOpenCompute/llvm-project roc-6.4.0 25133 c7fe45cf4b819c5991fe208aaa96edf142730f1d)"
	.section	".note.GNU-stack","",@progbits
	.addrsig
	.addrsig_sym __hip_cuid_5482386d38c098bf
	.amdgpu_metadata
---
amdhsa.kernels:
  - .agpr_count:     0
    .args:
      - .address_space:  global
        .offset:         0
        .size:           8
        .value_kind:     global_buffer
      - .actual_access:  read_only
        .address_space:  global
        .offset:         8
        .size:           8
        .value_kind:     global_buffer
      - .actual_access:  read_only
        .address_space:  global
        .offset:         16
        .size:           8
        .value_kind:     global_buffer
      - .actual_access:  read_only
        .address_space:  global
        .offset:         24
        .size:           8
        .value_kind:     global_buffer
      - .offset:         32
        .size:           4
        .value_kind:     by_value
      - .offset:         36
        .size:           4
        .value_kind:     by_value
      - .offset:         40
        .size:           4
        .value_kind:     by_value
      - .offset:         48
        .size:           4
        .value_kind:     hidden_block_count_x
      - .offset:         52
        .size:           4
        .value_kind:     hidden_block_count_y
      - .offset:         56
        .size:           4
        .value_kind:     hidden_block_count_z
      - .offset:         60
        .size:           2
        .value_kind:     hidden_group_size_x
      - .offset:         62
        .size:           2
        .value_kind:     hidden_group_size_y
      - .offset:         64
        .size:           2
        .value_kind:     hidden_group_size_z
      - .offset:         66
        .size:           2
        .value_kind:     hidden_remainder_x
      - .offset:         68
        .size:           2
        .value_kind:     hidden_remainder_y
      - .offset:         70
        .size:           2
        .value_kind:     hidden_remainder_z
      - .offset:         88
        .size:           8
        .value_kind:     hidden_global_offset_x
      - .offset:         96
        .size:           8
        .value_kind:     hidden_global_offset_y
      - .offset:         104
        .size:           8
        .value_kind:     hidden_global_offset_z
      - .offset:         112
        .size:           2
        .value_kind:     hidden_grid_dims
    .group_segment_fixed_size: 0
    .kernarg_segment_align: 8
    .kernarg_segment_size: 304
    .language:       OpenCL C
    .language_version:
      - 2
      - 0
    .max_flat_workgroup_size: 1024
    .name:           _ZN4vllm33apply_repetition_penalties_kernelIfEEvPT_PKbS4_PKS1_iii
    .private_segment_fixed_size: 0
    .sgpr_count:     24
    .sgpr_spill_count: 0
    .symbol:         _ZN4vllm33apply_repetition_penalties_kernelIfEEvPT_PKbS4_PKS1_iii.kd
    .uniform_work_group_size: 1
    .uses_dynamic_stack: false
    .vgpr_count:     11
    .vgpr_spill_count: 0
    .wavefront_size: 64
  - .agpr_count:     0
    .args:
      - .address_space:  global
        .offset:         0
        .size:           8
        .value_kind:     global_buffer
      - .actual_access:  read_only
        .address_space:  global
        .offset:         8
        .size:           8
        .value_kind:     global_buffer
      - .actual_access:  read_only
        .address_space:  global
        .offset:         16
        .size:           8
        .value_kind:     global_buffer
      - .actual_access:  read_only
        .address_space:  global
        .offset:         24
        .size:           8
        .value_kind:     global_buffer
      - .offset:         32
        .size:           4
        .value_kind:     by_value
      - .offset:         36
        .size:           4
        .value_kind:     by_value
      - .offset:         40
        .size:           4
        .value_kind:     by_value
      - .offset:         48
        .size:           4
        .value_kind:     hidden_block_count_x
      - .offset:         52
        .size:           4
        .value_kind:     hidden_block_count_y
      - .offset:         56
        .size:           4
        .value_kind:     hidden_block_count_z
      - .offset:         60
        .size:           2
        .value_kind:     hidden_group_size_x
      - .offset:         62
        .size:           2
        .value_kind:     hidden_group_size_y
      - .offset:         64
        .size:           2
        .value_kind:     hidden_group_size_z
      - .offset:         66
        .size:           2
        .value_kind:     hidden_remainder_x
      - .offset:         68
        .size:           2
        .value_kind:     hidden_remainder_y
      - .offset:         70
        .size:           2
        .value_kind:     hidden_remainder_z
      - .offset:         88
        .size:           8
        .value_kind:     hidden_global_offset_x
      - .offset:         96
        .size:           8
        .value_kind:     hidden_global_offset_y
      - .offset:         104
        .size:           8
        .value_kind:     hidden_global_offset_z
      - .offset:         112
        .size:           2
        .value_kind:     hidden_grid_dims
    .group_segment_fixed_size: 0
    .kernarg_segment_align: 8
    .kernarg_segment_size: 304
    .language:       OpenCL C
    .language_version:
      - 2
      - 0
    .max_flat_workgroup_size: 1024
    .name:           _ZN4vllm33apply_repetition_penalties_kernelIN3c104HalfEEEvPT_PKbS6_PKS3_iii
    .private_segment_fixed_size: 0
    .sgpr_count:     21
    .sgpr_spill_count: 0
    .symbol:         _ZN4vllm33apply_repetition_penalties_kernelIN3c104HalfEEEvPT_PKbS6_PKS3_iii.kd
    .uniform_work_group_size: 1
    .uses_dynamic_stack: false
    .vgpr_count:     12
    .vgpr_spill_count: 0
    .wavefront_size: 64
  - .agpr_count:     0
    .args:
      - .address_space:  global
        .offset:         0
        .size:           8
        .value_kind:     global_buffer
      - .actual_access:  read_only
        .address_space:  global
        .offset:         8
        .size:           8
        .value_kind:     global_buffer
      - .actual_access:  read_only
        .address_space:  global
        .offset:         16
        .size:           8
        .value_kind:     global_buffer
      - .actual_access:  read_only
        .address_space:  global
        .offset:         24
        .size:           8
        .value_kind:     global_buffer
      - .offset:         32
        .size:           4
        .value_kind:     by_value
      - .offset:         36
        .size:           4
        .value_kind:     by_value
      - .offset:         40
        .size:           4
        .value_kind:     by_value
      - .offset:         48
        .size:           4
        .value_kind:     hidden_block_count_x
      - .offset:         52
        .size:           4
        .value_kind:     hidden_block_count_y
      - .offset:         56
        .size:           4
        .value_kind:     hidden_block_count_z
      - .offset:         60
        .size:           2
        .value_kind:     hidden_group_size_x
      - .offset:         62
        .size:           2
        .value_kind:     hidden_group_size_y
      - .offset:         64
        .size:           2
        .value_kind:     hidden_group_size_z
      - .offset:         66
        .size:           2
        .value_kind:     hidden_remainder_x
      - .offset:         68
        .size:           2
        .value_kind:     hidden_remainder_y
      - .offset:         70
        .size:           2
        .value_kind:     hidden_remainder_z
      - .offset:         88
        .size:           8
        .value_kind:     hidden_global_offset_x
      - .offset:         96
        .size:           8
        .value_kind:     hidden_global_offset_y
      - .offset:         104
        .size:           8
        .value_kind:     hidden_global_offset_z
      - .offset:         112
        .size:           2
        .value_kind:     hidden_grid_dims
    .group_segment_fixed_size: 0
    .kernarg_segment_align: 8
    .kernarg_segment_size: 304
    .language:       OpenCL C
    .language_version:
      - 2
      - 0
    .max_flat_workgroup_size: 1024
    .name:           _ZN4vllm33apply_repetition_penalties_kernelIN3c108BFloat16EEEvPT_PKbS6_PKS3_iii
    .private_segment_fixed_size: 0
    .sgpr_count:     21
    .sgpr_spill_count: 0
    .symbol:         _ZN4vllm33apply_repetition_penalties_kernelIN3c108BFloat16EEEvPT_PKbS6_PKS3_iii.kd
    .uniform_work_group_size: 1
    .uses_dynamic_stack: false
    .vgpr_count:     13
    .vgpr_spill_count: 0
    .wavefront_size: 64
  - .agpr_count:     0
    .args:
      - .address_space:  global
        .offset:         0
        .size:           8
        .value_kind:     global_buffer
      - .address_space:  global
        .offset:         8
        .size:           8
        .value_kind:     global_buffer
      - .address_space:  global
        .offset:         16
        .size:           8
        .value_kind:     global_buffer
      - .offset:         24
        .size:           4
        .value_kind:     by_value
      - .offset:         28
        .size:           4
        .value_kind:     by_value
      - .offset:         32
        .size:           4
        .value_kind:     by_value
      - .offset:         36
        .size:           4
        .value_kind:     by_value
      - .offset:         40
        .size:           4
        .value_kind:     by_value
      - .address_space:  global
        .offset:         48
        .size:           8
        .value_kind:     global_buffer
      - .offset:         56
        .size:           4
        .value_kind:     by_value
      - .address_space:  global
        .offset:         64
        .size:           8
        .value_kind:     global_buffer
      - .offset:         72
        .size:           4
        .value_kind:     hidden_block_count_x
      - .offset:         76
        .size:           4
        .value_kind:     hidden_block_count_y
      - .offset:         80
        .size:           4
        .value_kind:     hidden_block_count_z
      - .offset:         84
        .size:           2
        .value_kind:     hidden_group_size_x
      - .offset:         86
        .size:           2
        .value_kind:     hidden_group_size_y
      - .offset:         88
        .size:           2
        .value_kind:     hidden_group_size_z
      - .offset:         90
        .size:           2
        .value_kind:     hidden_remainder_x
      - .offset:         92
        .size:           2
        .value_kind:     hidden_remainder_y
      - .offset:         94
        .size:           2
        .value_kind:     hidden_remainder_z
      - .offset:         112
        .size:           8
        .value_kind:     hidden_global_offset_x
      - .offset:         120
        .size:           8
        .value_kind:     hidden_global_offset_y
      - .offset:         128
        .size:           8
        .value_kind:     hidden_global_offset_z
      - .offset:         136
        .size:           2
        .value_kind:     hidden_grid_dims
      - .offset:         152
        .size:           8
        .value_kind:     hidden_hostcall_buffer
      - .offset:         160
        .size:           8
        .value_kind:     hidden_multigrid_sync_arg
      - .offset:         168
        .size:           8
        .value_kind:     hidden_heap_v1
      - .offset:         176
        .size:           8
        .value_kind:     hidden_default_queue
      - .offset:         184
        .size:           8
        .value_kind:     hidden_completion_action
      - .offset:         192
        .size:           4
        .value_kind:     hidden_dynamic_lds_size
      - .offset:         272
        .size:           8
        .value_kind:     hidden_queue_ptr
    .group_segment_fixed_size: 33056
    .kernarg_segment_align: 8
    .kernarg_segment_size: 328
    .language:       OpenCL C
    .language_version:
      - 2
      - 0
    .max_flat_workgroup_size: 512
    .name:           _ZN4vllmL16topKPerRowDecodeILi512ELb0ELb0ELb0EEEvPKfPKiPiiiiiiPfiS4_
    .private_segment_fixed_size: 8
    .sgpr_count:     61
    .sgpr_spill_count: 0
    .symbol:         _ZN4vllmL16topKPerRowDecodeILi512ELb0ELb0ELb0EEEvPKfPKiPiiiiiiPfiS4_.kd
    .uniform_work_group_size: 1
    .uses_dynamic_stack: false
    .vgpr_count:     37
    .vgpr_spill_count: 0
    .wavefront_size: 64
  - .agpr_count:     0
    .args:
      - .address_space:  global
        .offset:         0
        .size:           8
        .value_kind:     global_buffer
      - .address_space:  global
        .offset:         8
        .size:           8
        .value_kind:     global_buffer
      - .address_space:  global
        .offset:         16
        .size:           8
        .value_kind:     global_buffer
      - .offset:         24
        .size:           4
        .value_kind:     by_value
      - .offset:         28
        .size:           4
        .value_kind:     by_value
      - .offset:         32
        .size:           4
        .value_kind:     by_value
      - .offset:         36
        .size:           4
        .value_kind:     by_value
      - .offset:         40
        .size:           4
        .value_kind:     by_value
      - .address_space:  global
        .offset:         48
        .size:           8
        .value_kind:     global_buffer
      - .offset:         56
        .size:           4
        .value_kind:     by_value
      - .address_space:  global
        .offset:         64
        .size:           8
        .value_kind:     global_buffer
      - .offset:         72
        .size:           4
        .value_kind:     hidden_block_count_x
      - .offset:         76
        .size:           4
        .value_kind:     hidden_block_count_y
      - .offset:         80
        .size:           4
        .value_kind:     hidden_block_count_z
      - .offset:         84
        .size:           2
        .value_kind:     hidden_group_size_x
      - .offset:         86
        .size:           2
        .value_kind:     hidden_group_size_y
      - .offset:         88
        .size:           2
        .value_kind:     hidden_group_size_z
      - .offset:         90
        .size:           2
        .value_kind:     hidden_remainder_x
      - .offset:         92
        .size:           2
        .value_kind:     hidden_remainder_y
      - .offset:         94
        .size:           2
        .value_kind:     hidden_remainder_z
      - .offset:         112
        .size:           8
        .value_kind:     hidden_global_offset_x
      - .offset:         120
        .size:           8
        .value_kind:     hidden_global_offset_y
      - .offset:         128
        .size:           8
        .value_kind:     hidden_global_offset_z
      - .offset:         136
        .size:           2
        .value_kind:     hidden_grid_dims
      - .offset:         152
        .size:           8
        .value_kind:     hidden_hostcall_buffer
      - .offset:         160
        .size:           8
        .value_kind:     hidden_multigrid_sync_arg
      - .offset:         168
        .size:           8
        .value_kind:     hidden_heap_v1
      - .offset:         176
        .size:           8
        .value_kind:     hidden_default_queue
      - .offset:         184
        .size:           8
        .value_kind:     hidden_completion_action
      - .offset:         192
        .size:           4
        .value_kind:     hidden_dynamic_lds_size
      - .offset:         272
        .size:           8
        .value_kind:     hidden_queue_ptr
    .group_segment_fixed_size: 33056
    .kernarg_segment_align: 8
    .kernarg_segment_size: 328
    .language:       OpenCL C
    .language_version:
      - 2
      - 0
    .max_flat_workgroup_size: 512
    .name:           _ZN4vllmL16topKPerRowDecodeILi512ELb1ELb0ELb0EEEvPKfPKiPiiiiiiPfiS4_
    .private_segment_fixed_size: 8
    .sgpr_count:     65
    .sgpr_spill_count: 0
    .symbol:         _ZN4vllmL16topKPerRowDecodeILi512ELb1ELb0ELb0EEEvPKfPKiPiiiiiiPfiS4_.kd
    .uniform_work_group_size: 1
    .uses_dynamic_stack: false
    .vgpr_count:     82
    .vgpr_spill_count: 0
    .wavefront_size: 64
  - .agpr_count:     0
    .args:
      - .address_space:  global
        .offset:         0
        .size:           8
        .value_kind:     global_buffer
      - .address_space:  global
        .offset:         8
        .size:           8
        .value_kind:     global_buffer
      - .address_space:  global
        .offset:         16
        .size:           8
        .value_kind:     global_buffer
      - .offset:         24
        .size:           4
        .value_kind:     by_value
      - .offset:         28
        .size:           4
        .value_kind:     by_value
      - .offset:         32
        .size:           4
        .value_kind:     by_value
      - .offset:         36
        .size:           4
        .value_kind:     by_value
      - .offset:         40
        .size:           4
        .value_kind:     by_value
      - .address_space:  global
        .offset:         48
        .size:           8
        .value_kind:     global_buffer
      - .offset:         56
        .size:           4
        .value_kind:     by_value
      - .address_space:  global
        .offset:         64
        .size:           8
        .value_kind:     global_buffer
      - .offset:         72
        .size:           4
        .value_kind:     hidden_block_count_x
      - .offset:         76
        .size:           4
        .value_kind:     hidden_block_count_y
      - .offset:         80
        .size:           4
        .value_kind:     hidden_block_count_z
      - .offset:         84
        .size:           2
        .value_kind:     hidden_group_size_x
      - .offset:         86
        .size:           2
        .value_kind:     hidden_group_size_y
      - .offset:         88
        .size:           2
        .value_kind:     hidden_group_size_z
      - .offset:         90
        .size:           2
        .value_kind:     hidden_remainder_x
      - .offset:         92
        .size:           2
        .value_kind:     hidden_remainder_y
      - .offset:         94
        .size:           2
        .value_kind:     hidden_remainder_z
      - .offset:         112
        .size:           8
        .value_kind:     hidden_global_offset_x
      - .offset:         120
        .size:           8
        .value_kind:     hidden_global_offset_y
      - .offset:         128
        .size:           8
        .value_kind:     hidden_global_offset_z
      - .offset:         136
        .size:           2
        .value_kind:     hidden_grid_dims
      - .offset:         152
        .size:           8
        .value_kind:     hidden_hostcall_buffer
      - .offset:         160
        .size:           8
        .value_kind:     hidden_multigrid_sync_arg
      - .offset:         168
        .size:           8
        .value_kind:     hidden_heap_v1
      - .offset:         176
        .size:           8
        .value_kind:     hidden_default_queue
      - .offset:         184
        .size:           8
        .value_kind:     hidden_completion_action
      - .offset:         192
        .size:           4
        .value_kind:     hidden_dynamic_lds_size
      - .offset:         272
        .size:           8
        .value_kind:     hidden_queue_ptr
    .group_segment_fixed_size: 49456
    .kernarg_segment_align: 8
    .kernarg_segment_size: 328
    .language:       OpenCL C
    .language_version:
      - 2
      - 0
    .max_flat_workgroup_size: 512
    .name:           _ZN4vllmL16topKPerRowDecodeILi512ELb1ELb1ELb0EEEvPKfPKiPiiiiiiPfiS4_
    .private_segment_fixed_size: 8
    .sgpr_count:     63
    .sgpr_spill_count: 0
    .symbol:         _ZN4vllmL16topKPerRowDecodeILi512ELb1ELb1ELb0EEEvPKfPKiPiiiiiiPfiS4_.kd
    .uniform_work_group_size: 1
    .uses_dynamic_stack: false
    .vgpr_count:     72
    .vgpr_spill_count: 0
    .wavefront_size: 64
  - .agpr_count:     0
    .args:
      - .address_space:  global
        .offset:         0
        .size:           8
        .value_kind:     global_buffer
      - .address_space:  global
        .offset:         8
        .size:           8
        .value_kind:     global_buffer
      - .address_space:  global
        .offset:         16
        .size:           8
        .value_kind:     global_buffer
      - .offset:         24
        .size:           4
        .value_kind:     by_value
      - .offset:         28
        .size:           4
        .value_kind:     by_value
      - .offset:         32
        .size:           4
        .value_kind:     by_value
      - .offset:         36
        .size:           4
        .value_kind:     by_value
      - .offset:         40
        .size:           4
        .value_kind:     by_value
      - .address_space:  global
        .offset:         48
        .size:           8
        .value_kind:     global_buffer
      - .offset:         56
        .size:           4
        .value_kind:     by_value
      - .address_space:  global
        .offset:         64
        .size:           8
        .value_kind:     global_buffer
      - .offset:         72
        .size:           4
        .value_kind:     hidden_block_count_x
      - .offset:         76
        .size:           4
        .value_kind:     hidden_block_count_y
      - .offset:         80
        .size:           4
        .value_kind:     hidden_block_count_z
      - .offset:         84
        .size:           2
        .value_kind:     hidden_group_size_x
      - .offset:         86
        .size:           2
        .value_kind:     hidden_group_size_y
      - .offset:         88
        .size:           2
        .value_kind:     hidden_group_size_z
      - .offset:         90
        .size:           2
        .value_kind:     hidden_remainder_x
      - .offset:         92
        .size:           2
        .value_kind:     hidden_remainder_y
      - .offset:         94
        .size:           2
        .value_kind:     hidden_remainder_z
      - .offset:         112
        .size:           8
        .value_kind:     hidden_global_offset_x
      - .offset:         120
        .size:           8
        .value_kind:     hidden_global_offset_y
      - .offset:         128
        .size:           8
        .value_kind:     hidden_global_offset_z
      - .offset:         136
        .size:           2
        .value_kind:     hidden_grid_dims
      - .offset:         192
        .size:           4
        .value_kind:     hidden_dynamic_lds_size
    .group_segment_fixed_size: 16720
    .kernarg_segment_align: 8
    .kernarg_segment_size: 328
    .language:       OpenCL C
    .language_version:
      - 2
      - 0
    .max_flat_workgroup_size: 1024
    .name:           _ZN4vllmL16topKPerRowDecodeILi1024ELb1ELb0ELb1EEEvPKfPKiPiiiiiiPfiS4_
    .private_segment_fixed_size: 0
    .sgpr_count:     70
    .sgpr_spill_count: 0
    .symbol:         _ZN4vllmL16topKPerRowDecodeILi1024ELb1ELb0ELb1EEEvPKfPKiPiiiiiiPfiS4_.kd
    .uniform_work_group_size: 1
    .uses_dynamic_stack: false
    .vgpr_count:     52
    .vgpr_spill_count: 0
    .wavefront_size: 64
  - .agpr_count:     0
    .args:
      - .address_space:  global
        .offset:         0
        .size:           8
        .value_kind:     global_buffer
      - .address_space:  global
        .offset:         8
        .size:           8
        .value_kind:     global_buffer
      - .address_space:  global
        .offset:         16
        .size:           8
        .value_kind:     global_buffer
      - .address_space:  global
        .offset:         24
        .size:           8
        .value_kind:     global_buffer
      - .offset:         32
        .size:           4
        .value_kind:     by_value
      - .offset:         36
        .size:           4
        .value_kind:     by_value
      - .offset:         40
        .size:           4
        .value_kind:     by_value
      - .offset:         44
        .size:           4
        .value_kind:     by_value
      - .offset:         48
        .size:           4
        .value_kind:     hidden_block_count_x
      - .offset:         52
        .size:           4
        .value_kind:     hidden_block_count_y
      - .offset:         56
        .size:           4
        .value_kind:     hidden_block_count_z
      - .offset:         60
        .size:           2
        .value_kind:     hidden_group_size_x
      - .offset:         62
        .size:           2
        .value_kind:     hidden_group_size_y
      - .offset:         64
        .size:           2
        .value_kind:     hidden_group_size_z
      - .offset:         66
        .size:           2
        .value_kind:     hidden_remainder_x
      - .offset:         68
        .size:           2
        .value_kind:     hidden_remainder_y
      - .offset:         70
        .size:           2
        .value_kind:     hidden_remainder_z
      - .offset:         88
        .size:           8
        .value_kind:     hidden_global_offset_x
      - .offset:         96
        .size:           8
        .value_kind:     hidden_global_offset_y
      - .offset:         104
        .size:           8
        .value_kind:     hidden_global_offset_z
      - .offset:         112
        .size:           2
        .value_kind:     hidden_grid_dims
      - .offset:         128
        .size:           8
        .value_kind:     hidden_hostcall_buffer
      - .offset:         136
        .size:           8
        .value_kind:     hidden_multigrid_sync_arg
      - .offset:         144
        .size:           8
        .value_kind:     hidden_heap_v1
      - .offset:         152
        .size:           8
        .value_kind:     hidden_default_queue
      - .offset:         160
        .size:           8
        .value_kind:     hidden_completion_action
      - .offset:         168
        .size:           4
        .value_kind:     hidden_dynamic_lds_size
      - .offset:         248
        .size:           8
        .value_kind:     hidden_queue_ptr
    .group_segment_fixed_size: 33056
    .kernarg_segment_align: 8
    .kernarg_segment_size: 304
    .language:       OpenCL C
    .language_version:
      - 2
      - 0
    .max_flat_workgroup_size: 512
    .name:           _ZN4vllmL17topKPerRowPrefillILi512ELb0EEEvPKfPKiS4_Piiiii
    .private_segment_fixed_size: 8
    .sgpr_count:     61
    .sgpr_spill_count: 0
    .symbol:         _ZN4vllmL17topKPerRowPrefillILi512ELb0EEEvPKfPKiS4_Piiiii.kd
    .uniform_work_group_size: 1
    .uses_dynamic_stack: false
    .vgpr_count:     37
    .vgpr_spill_count: 0
    .wavefront_size: 64
  - .agpr_count:     0
    .args:
      - .address_space:  global
        .offset:         0
        .size:           8
        .value_kind:     global_buffer
      - .address_space:  global
        .offset:         8
        .size:           8
        .value_kind:     global_buffer
      - .address_space:  global
        .offset:         16
        .size:           8
        .value_kind:     global_buffer
      - .address_space:  global
        .offset:         24
        .size:           8
        .value_kind:     global_buffer
      - .offset:         32
        .size:           4
        .value_kind:     by_value
      - .offset:         36
        .size:           4
        .value_kind:     by_value
      - .offset:         40
        .size:           4
        .value_kind:     by_value
      - .offset:         44
        .size:           4
        .value_kind:     by_value
      - .offset:         48
        .size:           4
        .value_kind:     hidden_block_count_x
      - .offset:         52
        .size:           4
        .value_kind:     hidden_block_count_y
      - .offset:         56
        .size:           4
        .value_kind:     hidden_block_count_z
      - .offset:         60
        .size:           2
        .value_kind:     hidden_group_size_x
      - .offset:         62
        .size:           2
        .value_kind:     hidden_group_size_y
      - .offset:         64
        .size:           2
        .value_kind:     hidden_group_size_z
      - .offset:         66
        .size:           2
        .value_kind:     hidden_remainder_x
      - .offset:         68
        .size:           2
        .value_kind:     hidden_remainder_y
      - .offset:         70
        .size:           2
        .value_kind:     hidden_remainder_z
      - .offset:         88
        .size:           8
        .value_kind:     hidden_global_offset_x
      - .offset:         96
        .size:           8
        .value_kind:     hidden_global_offset_y
      - .offset:         104
        .size:           8
        .value_kind:     hidden_global_offset_z
      - .offset:         112
        .size:           2
        .value_kind:     hidden_grid_dims
      - .offset:         128
        .size:           8
        .value_kind:     hidden_hostcall_buffer
      - .offset:         136
        .size:           8
        .value_kind:     hidden_multigrid_sync_arg
      - .offset:         144
        .size:           8
        .value_kind:     hidden_heap_v1
      - .offset:         152
        .size:           8
        .value_kind:     hidden_default_queue
      - .offset:         160
        .size:           8
        .value_kind:     hidden_completion_action
      - .offset:         168
        .size:           4
        .value_kind:     hidden_dynamic_lds_size
      - .offset:         248
        .size:           8
        .value_kind:     hidden_queue_ptr
    .group_segment_fixed_size: 33056
    .kernarg_segment_align: 8
    .kernarg_segment_size: 304
    .language:       OpenCL C
    .language_version:
      - 2
      - 0
    .max_flat_workgroup_size: 512
    .name:           _ZN4vllmL17topKPerRowPrefillILi512ELb1EEEvPKfPKiS4_Piiiii
    .private_segment_fixed_size: 8
    .sgpr_count:     65
    .sgpr_spill_count: 0
    .symbol:         _ZN4vllmL17topKPerRowPrefillILi512ELb1EEEvPKfPKiS4_Piiiii.kd
    .uniform_work_group_size: 1
    .uses_dynamic_stack: false
    .vgpr_count:     82
    .vgpr_spill_count: 0
    .wavefront_size: 64
amdhsa.target:   amdgcn-amd-amdhsa--gfx90a
amdhsa.version:
  - 1
  - 2
...

	.end_amdgpu_metadata
